;; amdgpu-corpus repo=ROCm/rocFFT kind=compiled arch=gfx906 opt=O3
	.text
	.amdgcn_target "amdgcn-amd-amdhsa--gfx906"
	.amdhsa_code_object_version 6
	.protected	fft_rtc_fwd_len1638_factors_13_2_3_7_3_wgs_182_tpt_182_halfLds_dp_ip_CI_unitstride_sbrr_dirReg ; -- Begin function fft_rtc_fwd_len1638_factors_13_2_3_7_3_wgs_182_tpt_182_halfLds_dp_ip_CI_unitstride_sbrr_dirReg
	.globl	fft_rtc_fwd_len1638_factors_13_2_3_7_3_wgs_182_tpt_182_halfLds_dp_ip_CI_unitstride_sbrr_dirReg
	.p2align	8
	.type	fft_rtc_fwd_len1638_factors_13_2_3_7_3_wgs_182_tpt_182_halfLds_dp_ip_CI_unitstride_sbrr_dirReg,@function
fft_rtc_fwd_len1638_factors_13_2_3_7_3_wgs_182_tpt_182_halfLds_dp_ip_CI_unitstride_sbrr_dirReg: ; @fft_rtc_fwd_len1638_factors_13_2_3_7_3_wgs_182_tpt_182_halfLds_dp_ip_CI_unitstride_sbrr_dirReg
; %bb.0:
	s_load_dwordx2 s[12:13], s[4:5], 0x50
	s_load_dwordx4 s[8:11], s[4:5], 0x0
	s_load_dwordx2 s[2:3], s[4:5], 0x18
	v_mul_u32_u24_e32 v1, 0x169, v0
	v_add_u32_sdwa v5, s6, v1 dst_sel:DWORD dst_unused:UNUSED_PAD src0_sel:DWORD src1_sel:WORD_1
	v_mov_b32_e32 v3, 0
	s_waitcnt lgkmcnt(0)
	v_cmp_lt_u64_e64 s[0:1], s[10:11], 2
	v_mov_b32_e32 v1, 0
	v_mov_b32_e32 v6, v3
	s_and_b64 vcc, exec, s[0:1]
	v_mov_b32_e32 v2, 0
	s_cbranch_vccnz .LBB0_8
; %bb.1:
	s_load_dwordx2 s[0:1], s[4:5], 0x10
	s_add_u32 s6, s2, 8
	s_addc_u32 s7, s3, 0
	v_mov_b32_e32 v1, 0
	v_mov_b32_e32 v2, 0
	s_waitcnt lgkmcnt(0)
	s_add_u32 s14, s0, 8
	s_addc_u32 s15, s1, 0
	s_mov_b64 s[16:17], 1
.LBB0_2:                                ; =>This Inner Loop Header: Depth=1
	s_load_dwordx2 s[18:19], s[14:15], 0x0
                                        ; implicit-def: $vgpr7_vgpr8
	s_waitcnt lgkmcnt(0)
	v_or_b32_e32 v4, s19, v6
	v_cmp_ne_u64_e32 vcc, 0, v[3:4]
	s_and_saveexec_b64 s[0:1], vcc
	s_xor_b64 s[20:21], exec, s[0:1]
	s_cbranch_execz .LBB0_4
; %bb.3:                                ;   in Loop: Header=BB0_2 Depth=1
	v_cvt_f32_u32_e32 v4, s18
	v_cvt_f32_u32_e32 v7, s19
	s_sub_u32 s0, 0, s18
	s_subb_u32 s1, 0, s19
	v_mac_f32_e32 v4, 0x4f800000, v7
	v_rcp_f32_e32 v4, v4
	v_mul_f32_e32 v4, 0x5f7ffffc, v4
	v_mul_f32_e32 v7, 0x2f800000, v4
	v_trunc_f32_e32 v7, v7
	v_mac_f32_e32 v4, 0xcf800000, v7
	v_cvt_u32_f32_e32 v7, v7
	v_cvt_u32_f32_e32 v4, v4
	v_mul_lo_u32 v8, s0, v7
	v_mul_hi_u32 v9, s0, v4
	v_mul_lo_u32 v11, s1, v4
	v_mul_lo_u32 v10, s0, v4
	v_add_u32_e32 v8, v9, v8
	v_add_u32_e32 v8, v8, v11
	v_mul_hi_u32 v9, v4, v10
	v_mul_lo_u32 v11, v4, v8
	v_mul_hi_u32 v13, v4, v8
	v_mul_hi_u32 v12, v7, v10
	v_mul_lo_u32 v10, v7, v10
	v_mul_hi_u32 v14, v7, v8
	v_add_co_u32_e32 v9, vcc, v9, v11
	v_addc_co_u32_e32 v11, vcc, 0, v13, vcc
	v_mul_lo_u32 v8, v7, v8
	v_add_co_u32_e32 v9, vcc, v9, v10
	v_addc_co_u32_e32 v9, vcc, v11, v12, vcc
	v_addc_co_u32_e32 v10, vcc, 0, v14, vcc
	v_add_co_u32_e32 v8, vcc, v9, v8
	v_addc_co_u32_e32 v9, vcc, 0, v10, vcc
	v_add_co_u32_e32 v4, vcc, v4, v8
	v_addc_co_u32_e32 v7, vcc, v7, v9, vcc
	v_mul_lo_u32 v8, s0, v7
	v_mul_hi_u32 v9, s0, v4
	v_mul_lo_u32 v10, s1, v4
	v_mul_lo_u32 v11, s0, v4
	v_add_u32_e32 v8, v9, v8
	v_add_u32_e32 v8, v8, v10
	v_mul_lo_u32 v12, v4, v8
	v_mul_hi_u32 v13, v4, v11
	v_mul_hi_u32 v14, v4, v8
	;; [unrolled: 1-line block ×3, first 2 shown]
	v_mul_lo_u32 v11, v7, v11
	v_mul_hi_u32 v9, v7, v8
	v_add_co_u32_e32 v12, vcc, v13, v12
	v_addc_co_u32_e32 v13, vcc, 0, v14, vcc
	v_mul_lo_u32 v8, v7, v8
	v_add_co_u32_e32 v11, vcc, v12, v11
	v_addc_co_u32_e32 v10, vcc, v13, v10, vcc
	v_addc_co_u32_e32 v9, vcc, 0, v9, vcc
	v_add_co_u32_e32 v8, vcc, v10, v8
	v_addc_co_u32_e32 v9, vcc, 0, v9, vcc
	v_add_co_u32_e32 v4, vcc, v4, v8
	v_addc_co_u32_e32 v9, vcc, v7, v9, vcc
	v_mad_u64_u32 v[7:8], s[0:1], v5, v9, 0
	v_mul_hi_u32 v10, v5, v4
	v_add_co_u32_e32 v11, vcc, v10, v7
	v_addc_co_u32_e32 v12, vcc, 0, v8, vcc
	v_mad_u64_u32 v[7:8], s[0:1], v6, v4, 0
	v_mad_u64_u32 v[9:10], s[0:1], v6, v9, 0
	v_add_co_u32_e32 v4, vcc, v11, v7
	v_addc_co_u32_e32 v4, vcc, v12, v8, vcc
	v_addc_co_u32_e32 v7, vcc, 0, v10, vcc
	v_add_co_u32_e32 v4, vcc, v4, v9
	v_addc_co_u32_e32 v9, vcc, 0, v7, vcc
	v_mul_lo_u32 v10, s19, v4
	v_mul_lo_u32 v11, s18, v9
	v_mad_u64_u32 v[7:8], s[0:1], s18, v4, 0
	v_add3_u32 v8, v8, v11, v10
	v_sub_u32_e32 v10, v6, v8
	v_mov_b32_e32 v11, s19
	v_sub_co_u32_e32 v7, vcc, v5, v7
	v_subb_co_u32_e64 v10, s[0:1], v10, v11, vcc
	v_subrev_co_u32_e64 v11, s[0:1], s18, v7
	v_subbrev_co_u32_e64 v10, s[0:1], 0, v10, s[0:1]
	v_cmp_le_u32_e64 s[0:1], s19, v10
	v_cndmask_b32_e64 v12, 0, -1, s[0:1]
	v_cmp_le_u32_e64 s[0:1], s18, v11
	v_cndmask_b32_e64 v11, 0, -1, s[0:1]
	v_cmp_eq_u32_e64 s[0:1], s19, v10
	v_cndmask_b32_e64 v10, v12, v11, s[0:1]
	v_add_co_u32_e64 v11, s[0:1], 2, v4
	v_addc_co_u32_e64 v12, s[0:1], 0, v9, s[0:1]
	v_add_co_u32_e64 v13, s[0:1], 1, v4
	v_addc_co_u32_e64 v14, s[0:1], 0, v9, s[0:1]
	v_subb_co_u32_e32 v8, vcc, v6, v8, vcc
	v_cmp_ne_u32_e64 s[0:1], 0, v10
	v_cmp_le_u32_e32 vcc, s19, v8
	v_cndmask_b32_e64 v10, v14, v12, s[0:1]
	v_cndmask_b32_e64 v12, 0, -1, vcc
	v_cmp_le_u32_e32 vcc, s18, v7
	v_cndmask_b32_e64 v7, 0, -1, vcc
	v_cmp_eq_u32_e32 vcc, s19, v8
	v_cndmask_b32_e32 v7, v12, v7, vcc
	v_cmp_ne_u32_e32 vcc, 0, v7
	v_cndmask_b32_e64 v7, v13, v11, s[0:1]
	v_cndmask_b32_e32 v8, v9, v10, vcc
	v_cndmask_b32_e32 v7, v4, v7, vcc
.LBB0_4:                                ;   in Loop: Header=BB0_2 Depth=1
	s_andn2_saveexec_b64 s[0:1], s[20:21]
	s_cbranch_execz .LBB0_6
; %bb.5:                                ;   in Loop: Header=BB0_2 Depth=1
	v_cvt_f32_u32_e32 v4, s18
	s_sub_i32 s20, 0, s18
	v_rcp_iflag_f32_e32 v4, v4
	v_mul_f32_e32 v4, 0x4f7ffffe, v4
	v_cvt_u32_f32_e32 v4, v4
	v_mul_lo_u32 v7, s20, v4
	v_mul_hi_u32 v7, v4, v7
	v_add_u32_e32 v4, v4, v7
	v_mul_hi_u32 v4, v5, v4
	v_mul_lo_u32 v7, v4, s18
	v_add_u32_e32 v8, 1, v4
	v_sub_u32_e32 v7, v5, v7
	v_subrev_u32_e32 v9, s18, v7
	v_cmp_le_u32_e32 vcc, s18, v7
	v_cndmask_b32_e32 v7, v7, v9, vcc
	v_cndmask_b32_e32 v4, v4, v8, vcc
	v_add_u32_e32 v8, 1, v4
	v_cmp_le_u32_e32 vcc, s18, v7
	v_cndmask_b32_e32 v7, v4, v8, vcc
	v_mov_b32_e32 v8, v3
.LBB0_6:                                ;   in Loop: Header=BB0_2 Depth=1
	s_or_b64 exec, exec, s[0:1]
	v_mul_lo_u32 v4, v8, s18
	v_mul_lo_u32 v11, v7, s19
	v_mad_u64_u32 v[9:10], s[0:1], v7, s18, 0
	s_load_dwordx2 s[0:1], s[6:7], 0x0
	s_add_u32 s16, s16, 1
	v_add3_u32 v4, v10, v11, v4
	v_sub_co_u32_e32 v5, vcc, v5, v9
	v_subb_co_u32_e32 v4, vcc, v6, v4, vcc
	s_waitcnt lgkmcnt(0)
	v_mul_lo_u32 v4, s0, v4
	v_mul_lo_u32 v6, s1, v5
	v_mad_u64_u32 v[1:2], s[0:1], s0, v5, v[1:2]
	s_addc_u32 s17, s17, 0
	s_add_u32 s6, s6, 8
	v_add3_u32 v2, v6, v2, v4
	v_mov_b32_e32 v4, s10
	v_mov_b32_e32 v5, s11
	s_addc_u32 s7, s7, 0
	v_cmp_ge_u64_e32 vcc, s[16:17], v[4:5]
	s_add_u32 s14, s14, 8
	s_addc_u32 s15, s15, 0
	s_cbranch_vccnz .LBB0_9
; %bb.7:                                ;   in Loop: Header=BB0_2 Depth=1
	v_mov_b32_e32 v5, v7
	v_mov_b32_e32 v6, v8
	s_branch .LBB0_2
.LBB0_8:
	v_mov_b32_e32 v8, v6
	v_mov_b32_e32 v7, v5
.LBB0_9:
	s_lshl_b64 s[0:1], s[10:11], 3
	s_add_u32 s0, s2, s0
	s_addc_u32 s1, s3, s1
	s_load_dwordx2 s[2:3], s[0:1], 0x0
	s_load_dwordx2 s[6:7], s[4:5], 0x20
                                        ; implicit-def: $vgpr12_vgpr13
                                        ; implicit-def: $vgpr16_vgpr17
                                        ; implicit-def: $vgpr24_vgpr25
                                        ; implicit-def: $vgpr28_vgpr29
                                        ; implicit-def: $vgpr32_vgpr33
                                        ; implicit-def: $vgpr36_vgpr37
                                        ; implicit-def: $vgpr40_vgpr41
                                        ; implicit-def: $vgpr44_vgpr45
                                        ; implicit-def: $vgpr48_vgpr49
                                        ; implicit-def: $vgpr52_vgpr53
                                        ; implicit-def: $vgpr56_vgpr57
                                        ; implicit-def: $vgpr20_vgpr21
	s_waitcnt lgkmcnt(0)
	v_mad_u64_u32 v[1:2], s[0:1], s2, v7, v[1:2]
	s_mov_b32 s0, 0x1681682
	v_mul_lo_u32 v3, s2, v8
	v_mul_lo_u32 v4, s3, v7
	v_mul_hi_u32 v5, v0, s0
	v_cmp_gt_u64_e32 vcc, s[6:7], v[7:8]
	s_movk_i32 s0, 0x7e
	v_add3_u32 v2, v4, v2, v3
	v_mul_u32_u24_e32 v3, 0xb6, v5
	v_sub_u32_e32 v74, v0, v3
	v_cmp_gt_u32_e64 s[0:1], s0, v74
	v_lshlrev_b64 v[76:77], 4, v[1:2]
	s_and_b64 s[2:3], vcc, s[0:1]
                                        ; implicit-def: $vgpr8_vgpr9
	s_and_saveexec_b64 s[4:5], s[2:3]
	s_cbranch_execz .LBB0_11
; %bb.10:
	v_mov_b32_e32 v75, 0
	v_mov_b32_e32 v0, s13
	v_add_co_u32_e64 v2, s[2:3], s12, v76
	v_addc_co_u32_e64 v3, s[2:3], v0, v77, s[2:3]
	v_lshlrev_b64 v[0:1], 4, v[74:75]
	v_add_co_u32_e64 v0, s[2:3], v2, v0
	v_addc_co_u32_e64 v1, s[2:3], v3, v1, s[2:3]
	s_movk_i32 s2, 0x1000
	v_add_co_u32_e64 v2, s[2:3], s2, v0
	v_addc_co_u32_e64 v3, s[2:3], 0, v1, s[2:3]
	s_movk_i32 s2, 0x2000
	;; [unrolled: 3-line block ×5, first 2 shown]
	v_add_co_u32_e64 v62, s[2:3], s2, v0
	global_load_dwordx4 v[6:9], v[0:1], off
	global_load_dwordx4 v[18:21], v[0:1], off offset:2016
	v_addc_co_u32_e64 v63, s[2:3], 0, v1, s[2:3]
	global_load_dwordx4 v[54:57], v[0:1], off offset:4032
	global_load_dwordx4 v[50:53], v[2:3], off offset:1952
	;; [unrolled: 1-line block ×11, first 2 shown]
.LBB0_11:
	s_or_b64 exec, exec, s[4:5]
	s_waitcnt vmcnt(0)
	v_add_f64 v[68:69], v[10:11], v[18:19]
	s_mov_b32 s4, 0x1ea71119
	s_mov_b32 s5, 0x3fe22d96
	v_add_f64 v[90:91], v[20:21], -v[12:13]
	s_mov_b32 s22, 0x42a4c3d2
	s_mov_b32 s6, 0xebaa3ed8
	;; [unrolled: 1-line block ×4, first 2 shown]
	v_mul_f64 v[60:61], v[68:69], s[4:5]
	v_add_f64 v[66:67], v[14:15], v[54:55]
	v_mul_f64 v[64:65], v[68:69], s[6:7]
	s_mov_b32 s2, 0xe00740e9
	s_mov_b32 s10, 0xb2365da1
	;; [unrolled: 1-line block ×5, first 2 shown]
	v_fma_f64 v[72:73], v[90:91], s[22:23], v[60:61]
	s_mov_b32 s3, 0x3fec55a7
	s_mov_b32 s11, 0xbfd6b1d8
	s_mov_b32 s27, 0xbfefc445
	s_mov_b32 s25, 0xbfef11f4
	s_mov_b32 s17, 0xbfe7f3cc
	v_mul_f64 v[58:59], v[68:69], s[2:3]
	v_add_f64 v[108:109], v[56:57], -v[16:17]
	v_fma_f64 v[78:79], v[90:91], s[26:27], v[64:65]
	v_mul_f64 v[70:71], v[68:69], s[10:11]
	v_add_f64 v[80:81], v[6:7], v[72:73]
	v_mul_f64 v[72:73], v[66:67], s[24:25]
	v_mul_f64 v[120:121], v[68:69], s[16:17]
	s_mov_b32 s30, 0x4267c47c
	s_mov_b32 s14, 0x2ef20147
	;; [unrolled: 1-line block ×8, first 2 shown]
	v_mul_f64 v[4:5], v[66:67], s[4:5]
	v_fma_f64 v[0:1], v[90:91], s[30:31], v[58:59]
	v_mul_f64 v[62:63], v[66:67], s[10:11]
	v_add_f64 v[78:79], v[6:7], v[78:79]
	v_fma_f64 v[84:85], v[90:91], s[14:15], v[70:71]
	v_fma_f64 v[92:93], v[108:109], s[34:35], v[72:73]
	v_add_f64 v[94:95], v[22:23], v[50:51]
	v_mul_f64 v[86:87], v[66:67], s[16:17]
	v_fma_f64 v[88:89], v[90:91], s[28:29], v[120:121]
	v_mul_f64 v[126:127], v[66:67], s[6:7]
	s_mov_b32 s37, 0x3fe5384d
	s_mov_b32 s36, s28
	;; [unrolled: 1-line block ×4, first 2 shown]
	v_fma_f64 v[2:3], v[108:109], s[22:23], v[4:5]
	v_add_f64 v[0:1], v[6:7], v[0:1]
	v_fma_f64 v[82:83], v[108:109], s[14:15], v[62:63]
	v_add_f64 v[96:97], v[6:7], v[84:85]
	v_add_f64 v[130:131], v[52:53], -v[24:25]
	v_mul_f64 v[84:85], v[94:95], s[6:7]
	v_fma_f64 v[98:99], v[108:109], s[36:37], v[86:87]
	v_add_f64 v[100:101], v[6:7], v[88:89]
	v_fma_f64 v[102:103], v[108:109], s[18:19], v[126:127]
	v_mul_f64 v[88:89], v[94:95], s[24:25]
	v_add_f64 v[78:79], v[92:93], v[78:79]
	v_mul_f64 v[92:93], v[94:95], s[10:11]
	v_add_f64 v[104:105], v[26:27], v[46:47]
	s_mov_b32 s41, 0x3fedeba7
	s_mov_b32 s40, s14
	v_add_f64 v[0:1], v[2:3], v[0:1]
	v_fma_f64 v[2:3], v[130:131], s[26:27], v[84:85]
	v_add_f64 v[80:81], v[82:83], v[80:81]
	v_add_f64 v[82:83], v[98:99], v[96:97]
	;; [unrolled: 1-line block ×3, first 2 shown]
	v_mul_f64 v[98:99], v[94:95], s[2:3]
	v_fma_f64 v[110:111], v[130:131], s[34:35], v[88:89]
	v_fma_f64 v[112:113], v[130:131], s[40:41], v[92:93]
	v_mul_f64 v[114:115], v[94:95], s[4:5]
	v_add_f64 v[148:149], v[48:49], -v[28:29]
	v_mul_f64 v[96:97], v[104:105], s[10:11]
	v_mul_f64 v[102:103], v[104:105], s[2:3]
	s_mov_b32 s39, 0x3fddbe06
	s_mov_b32 s38, s30
	v_mul_f64 v[100:101], v[104:105], s[16:17]
	v_fma_f64 v[116:117], v[130:131], s[38:39], v[98:99]
	v_add_f64 v[0:1], v[2:3], v[0:1]
	v_fma_f64 v[2:3], v[130:131], s[22:23], v[114:115]
	v_add_f64 v[80:81], v[110:111], v[80:81]
	;; [unrolled: 2-line block ×4, first 2 shown]
	v_mul_f64 v[118:119], v[104:105], s[6:7]
	v_fma_f64 v[122:123], v[148:149], s[36:37], v[100:101]
	v_add_f64 v[82:83], v[116:117], v[82:83]
	v_add_f64 v[2:3], v[2:3], v[106:107]
	;; [unrolled: 1-line block ×3, first 2 shown]
	v_mul_f64 v[134:135], v[104:105], s[24:25]
	v_add_f64 v[78:79], v[112:113], v[78:79]
	v_add_f64 v[138:139], v[44:45], -v[32:33]
	v_mul_f64 v[106:107], v[124:125], s[16:17]
	v_mul_f64 v[110:111], v[124:125], s[6:7]
	v_fma_f64 v[116:117], v[148:149], s[26:27], v[118:119]
	v_mul_f64 v[112:113], v[124:125], s[4:5]
	v_mul_f64 v[132:133], v[124:125], s[24:25]
	s_mov_b32 s43, 0x3fcea1e5
	s_mov_b32 s42, s34
	v_add_f64 v[80:81], v[122:123], v[80:81]
	v_fma_f64 v[122:123], v[148:149], s[42:43], v[134:135]
	v_fma_f64 v[128:129], v[138:139], s[28:29], v[106:107]
	;; [unrolled: 1-line block ×3, first 2 shown]
	v_mul_f64 v[140:141], v[124:125], s[2:3]
	v_add_f64 v[82:83], v[116:117], v[82:83]
	v_add_f64 v[136:137], v[34:35], v[38:39]
	v_fma_f64 v[144:145], v[138:139], s[22:23], v[112:113]
	v_fma_f64 v[146:147], v[138:139], s[42:43], v[132:133]
	v_add_f64 v[2:3], v[122:123], v[2:3]
	v_add_f64 v[150:151], v[128:129], v[0:1]
	;; [unrolled: 1-line block ×3, first 2 shown]
	v_fma_f64 v[80:81], v[138:139], s[38:39], v[140:141]
	v_add_f64 v[142:143], v[40:41], -v[36:37]
	v_mul_f64 v[116:117], v[136:137], s[2:3]
	v_mul_f64 v[122:123], v[136:137], s[16:17]
	v_add_f64 v[78:79], v[144:145], v[78:79]
	v_add_f64 v[82:83], v[146:147], v[82:83]
	v_mul_f64 v[144:145], v[136:137], s[4:5]
	v_mul_f64 v[146:147], v[136:137], s[10:11]
	;; [unrolled: 1-line block ×3, first 2 shown]
	s_mov_b32 s45, 0x3fea55e2
	s_mov_b32 s44, s22
	v_add_f64 v[2:3], v[80:81], v[2:3]
	v_fma_f64 v[80:81], v[142:143], s[38:39], v[116:117]
	v_fma_f64 v[152:153], v[142:143], s[28:29], v[122:123]
	;; [unrolled: 1-line block ×5, first 2 shown]
	v_add_f64 v[0:1], v[80:81], v[0:1]
	v_add_f64 v[78:79], v[152:153], v[78:79]
	v_add_f64 v[80:81], v[154:155], v[82:83]
	v_add_f64 v[82:83], v[156:157], v[2:3]
	v_add_f64 v[2:3], v[158:159], v[150:151]
	s_and_saveexec_b64 s[20:21], s[0:1]
	s_cbranch_execz .LBB0_13
; %bb.12:
	v_mul_f64 v[158:159], v[90:91], s[28:29]
	v_mul_f64 v[150:151], v[90:91], s[30:31]
	;; [unrolled: 1-line block ×8, first 2 shown]
	v_add_f64 v[120:121], v[120:121], -v[158:159]
	v_mul_f64 v[162:163], v[108:109], s[14:15]
	v_mul_f64 v[164:165], v[108:109], s[34:35]
	;; [unrolled: 1-line block ×5, first 2 shown]
	v_fma_f64 v[198:199], v[68:69], s[24:25], v[90:91]
	v_fma_f64 v[68:69], v[68:69], s[24:25], -v[90:91]
	v_add_f64 v[90:91], v[126:127], -v[168:169]
	v_add_f64 v[120:121], v[6:7], v[120:121]
	v_add_f64 v[126:127], v[18:19], v[6:7]
	v_mul_f64 v[188:189], v[148:149], s[42:43]
	v_add_f64 v[58:59], v[58:59], -v[150:151]
	v_fma_f64 v[158:159], v[66:67], s[2:3], v[108:109]
	v_fma_f64 v[66:67], v[66:67], s[2:3], -v[108:109]
	v_add_f64 v[68:69], v[6:7], v[68:69]
	v_add_f64 v[108:109], v[114:115], -v[178:179]
	v_add_f64 v[90:91], v[90:91], v[120:121]
	v_add_f64 v[114:115], v[54:55], v[126:127]
	v_add_f64 v[64:65], v[64:65], -v[154:155]
	v_add_f64 v[60:61], v[60:61], -v[152:153]
	v_mul_f64 v[170:171], v[130:131], s[26:27]
	v_mul_f64 v[172:173], v[130:131], s[34:35]
	v_add_f64 v[66:67], v[66:67], v[68:69]
	v_add_f64 v[68:69], v[134:135], -v[188:189]
	v_add_f64 v[90:91], v[108:109], v[90:91]
	v_add_f64 v[108:109], v[50:51], v[114:115]
	v_mul_f64 v[174:175], v[130:131], s[40:41]
	v_mul_f64 v[176:177], v[130:131], s[38:39]
	;; [unrolled: 1-line block ×3, first 2 shown]
	v_add_f64 v[198:199], v[6:7], v[198:199]
	v_add_f64 v[70:71], v[70:71], -v[156:157]
	v_add_f64 v[4:5], v[4:5], -v[160:161]
	v_add_f64 v[68:69], v[68:69], v[90:91]
	v_add_f64 v[90:91], v[46:47], v[108:109]
	v_add_f64 v[58:59], v[6:7], v[58:59]
	v_add_f64 v[72:73], v[72:73], -v[164:165]
	v_add_f64 v[64:65], v[6:7], v[64:65]
	v_add_f64 v[62:63], v[62:63], -v[162:163]
	v_add_f64 v[60:61], v[6:7], v[60:61]
	v_mul_f64 v[180:181], v[148:149], s[14:15]
	v_mul_f64 v[182:183], v[148:149], s[36:37]
	v_add_f64 v[90:91], v[42:43], v[90:91]
	v_mul_f64 v[184:185], v[148:149], s[38:39]
	v_mul_f64 v[186:187], v[148:149], s[26:27]
	;; [unrolled: 1-line block ×3, first 2 shown]
	v_fma_f64 v[168:169], v[94:95], s[16:17], v[130:131]
	v_add_f64 v[158:159], v[158:159], v[198:199]
	v_add_f64 v[86:87], v[86:87], -v[166:167]
	v_add_f64 v[6:7], v[6:7], v[70:71]
	v_add_f64 v[90:91], v[38:39], v[90:91]
	v_add_f64 v[84:85], v[84:85], -v[170:171]
	v_add_f64 v[4:5], v[4:5], v[58:59]
	v_add_f64 v[70:71], v[92:93], -v[174:175]
	;; [unrolled: 2-line block ×3, first 2 shown]
	v_add_f64 v[60:61], v[62:63], v[60:61]
	v_fma_f64 v[120:121], v[104:105], s[4:5], v[148:149]
	v_add_f64 v[90:91], v[34:35], v[90:91]
	v_add_f64 v[126:127], v[168:169], v[158:159]
	v_fma_f64 v[94:95], v[94:95], s[16:17], -v[130:131]
	v_add_f64 v[98:99], v[98:99], -v[176:177]
	v_add_f64 v[6:7], v[86:87], v[6:7]
	v_mul_f64 v[190:191], v[138:139], s[28:29]
	v_add_f64 v[86:87], v[96:97], -v[180:181]
	v_add_f64 v[4:5], v[84:85], v[4:5]
	v_add_f64 v[58:59], v[30:31], v[90:91]
	v_mul_f64 v[192:193], v[138:139], s[18:19]
	v_mul_f64 v[194:195], v[138:139], s[22:23]
	v_add_f64 v[62:63], v[102:103], -v[184:185]
	v_add_f64 v[64:65], v[70:71], v[64:65]
	v_add_f64 v[70:71], v[100:101], -v[182:183]
	v_add_f64 v[60:61], v[72:73], v[60:61]
	v_mul_f64 v[196:197], v[138:139], s[42:43]
	v_add_f64 v[58:59], v[26:27], v[58:59]
	v_mul_f64 v[200:201], v[138:139], s[38:39]
	;; [unrolled: 2-line block ×3, first 2 shown]
	v_fma_f64 v[104:105], v[104:105], s[4:5], -v[148:149]
	v_add_f64 v[66:67], v[94:95], v[66:67]
	v_add_f64 v[118:119], v[118:119], -v[186:187]
	v_add_f64 v[6:7], v[98:99], v[6:7]
	v_mul_f64 v[138:139], v[138:139], s[14:15]
	v_mul_f64 v[202:203], v[142:143], s[34:35]
	v_add_f64 v[84:85], v[106:107], -v[190:191]
	v_add_f64 v[4:5], v[86:87], v[4:5]
	v_add_f64 v[58:59], v[22:23], v[58:59]
	v_mul_f64 v[204:205], v[142:143], s[38:39]
	v_mul_f64 v[206:207], v[142:143], s[28:29]
	v_add_f64 v[72:73], v[112:113], -v[194:195]
	v_add_f64 v[62:63], v[62:63], v[64:65]
	v_add_f64 v[64:65], v[110:111], -v[192:193]
	v_add_f64 v[60:61], v[70:71], v[60:61]
	v_mul_f64 v[208:209], v[142:143], s[44:45]
	v_add_f64 v[94:95], v[140:141], -v[200:201]
	v_add_f64 v[66:67], v[104:105], v[66:67]
	v_add_f64 v[104:105], v[146:147], -v[126:127]
	v_add_f64 v[126:127], v[132:133], -v[196:197]
	v_add_f64 v[6:7], v[118:119], v[6:7]
	v_mul_f64 v[158:159], v[142:143], s[18:19]
	v_fma_f64 v[114:115], v[124:125], s[10:11], v[138:139]
	v_fma_f64 v[124:125], v[124:125], s[10:11], -v[138:139]
	v_add_f64 v[86:87], v[128:129], -v[202:203]
	v_add_f64 v[4:5], v[84:85], v[4:5]
	v_add_f64 v[58:59], v[14:15], v[58:59]
	v_add_f64 v[70:71], v[122:123], -v[206:207]
	v_add_f64 v[62:63], v[72:73], v[62:63]
	v_add_f64 v[72:73], v[116:117], -v[204:205]
	v_add_f64 v[60:61], v[64:65], v[60:61]
	v_add_f64 v[68:69], v[94:95], v[68:69]
	v_add_f64 v[94:95], v[144:145], -v[208:209]
	v_add_f64 v[6:7], v[126:127], v[6:7]
	v_fma_f64 v[108:109], v[136:137], s[6:7], v[158:159]
	v_add_f64 v[114:115], v[114:115], v[120:121]
	v_fma_f64 v[120:121], v[136:137], s[6:7], -v[158:159]
	v_add_f64 v[64:65], v[124:125], v[66:67]
	v_add_f64 v[4:5], v[86:87], v[4:5]
	;; [unrolled: 1-line block ×9, first 2 shown]
	s_movk_i32 s2, 0x68
	v_mad_u32_u24 v70, v74, s2, 0
	ds_write2_b64 v70, v[58:59], v[4:5] offset1:1
	ds_write2_b64 v70, v[60:61], v[62:63] offset0:2 offset1:3
	ds_write2_b64 v70, v[6:7], v[68:69] offset0:4 offset1:5
	;; [unrolled: 1-line block ×5, first 2 shown]
	ds_write_b64 v70, v[2:3] offset:96
.LBB0_13:
	s_or_b64 exec, exec, s[20:21]
	v_lshl_add_u32 v75, v74, 3, 0
	v_add_u32_e32 v4, 0x1800, v75
	s_waitcnt lgkmcnt(0)
	s_barrier
	ds_read2_b64 v[58:61], v4 offset0:51 offset1:233
	v_add_u32_e32 v4, 0xa00, v75
	ds_read2_b64 v[70:73], v4 offset0:44 offset1:226
	v_add_u32_e32 v4, 0x2400, v75
	ds_read2_b64 v[66:69], v75 offset1:182
	ds_read2_b64 v[62:65], v4 offset0:31 offset1:213
	s_movk_i32 s2, 0x5b
	v_cmp_gt_u32_e64 s[2:3], s2, v74
	s_and_saveexec_b64 s[4:5], s[2:3]
	s_cbranch_execz .LBB0_15
; %bb.14:
	ds_read_b64 v[82:83], v75 offset:5824
	ds_read_b64 v[80:81], v75 offset:12376
.LBB0_15:
	s_or_b64 exec, exec, s[4:5]
	v_add_f64 v[86:87], v[18:19], -v[10:11]
	s_mov_b32 s28, 0x66966769
	s_mov_b32 s26, 0x24c2f84
	;; [unrolled: 1-line block ×6, first 2 shown]
	v_add_f64 v[10:11], v[12:13], v[20:21]
	v_mul_f64 v[18:19], v[86:87], s[22:23]
	v_mul_f64 v[88:89], v[86:87], s[28:29]
	;; [unrolled: 1-line block ×3, first 2 shown]
	v_add_f64 v[98:99], v[54:55], -v[14:15]
	s_mov_b32 s20, 0xe00740e9
	s_mov_b32 s4, 0xebaa3ed8
	;; [unrolled: 1-line block ×10, first 2 shown]
	v_mul_f64 v[84:85], v[86:87], s[14:15]
	v_fma_f64 v[4:5], v[10:11], s[20:21], -v[18:19]
	v_mul_f64 v[90:91], v[86:87], s[10:11]
	v_fma_f64 v[100:101], v[10:11], s[4:5], -v[88:89]
	v_fma_f64 v[102:103], v[10:11], s[24:25], -v[92:93]
	v_add_f64 v[14:15], v[16:17], v[56:57]
	v_mul_f64 v[94:95], v[98:99], s[14:15]
	s_mov_b32 s6, 0x1ea71119
	s_mov_b32 s16, 0xb2365da1
	;; [unrolled: 1-line block ×5, first 2 shown]
	v_fma_f64 v[6:7], v[10:11], s[6:7], -v[84:85]
	v_fma_f64 v[54:55], v[10:11], s[16:17], -v[90:91]
	v_mul_f64 v[96:97], v[98:99], s[10:11]
	v_add_f64 v[4:5], v[8:9], v[4:5]
	v_add_f64 v[106:107], v[8:9], v[100:101]
	;; [unrolled: 1-line block ×3, first 2 shown]
	v_fma_f64 v[102:103], v[14:15], s[6:7], -v[94:95]
	v_mul_f64 v[100:101], v[98:99], s[34:35]
	v_mul_f64 v[104:105], v[98:99], s[36:37]
	v_add_f64 v[140:141], v[50:51], -v[22:23]
	s_mov_b32 s30, 0x93053d00
	s_mov_b32 s18, s28
	;; [unrolled: 1-line block ×3, first 2 shown]
	v_add_f64 v[6:7], v[8:9], v[6:7]
	v_add_f64 v[54:55], v[8:9], v[54:55]
	v_fma_f64 v[110:111], v[14:15], s[16:17], -v[96:97]
	v_mul_f64 v[112:113], v[98:99], s[18:19]
	v_add_f64 v[4:5], v[102:103], v[4:5]
	v_fma_f64 v[50:51], v[14:15], s[30:31], -v[100:101]
	v_fma_f64 v[102:103], v[14:15], s[24:25], -v[104:105]
	v_add_f64 v[22:23], v[24:25], v[52:53]
	v_mul_f64 v[130:131], v[140:141], s[34:35]
	s_mov_b32 s39, 0x3fedeba7
	s_mov_b32 s38, s10
	;; [unrolled: 1-line block ×3, first 2 shown]
	v_add_f64 v[6:7], v[110:111], v[6:7]
	v_fma_f64 v[110:111], v[14:15], s[4:5], -v[112:113]
	v_mul_f64 v[128:129], v[140:141], s[28:29]
	v_mul_f64 v[134:135], v[140:141], s[38:39]
	;; [unrolled: 1-line block ×3, first 2 shown]
	v_add_f64 v[50:51], v[50:51], v[106:107]
	v_add_f64 v[54:55], v[102:103], v[54:55]
	v_add_f64 v[102:103], v[46:47], -v[26:27]
	v_fma_f64 v[106:107], v[22:23], s[30:31], -v[130:131]
	v_add_f64 v[110:111], v[110:111], v[108:109]
	v_fma_f64 v[46:47], v[22:23], s[4:5], -v[128:129]
	v_fma_f64 v[116:117], v[22:23], s[16:17], -v[134:135]
	v_fma_f64 v[120:121], v[22:23], s[20:21], -v[142:143]
	v_mul_f64 v[148:149], v[140:141], s[14:15]
	v_add_f64 v[26:27], v[28:29], v[48:49]
	v_mul_f64 v[108:109], v[102:103], s[10:11]
	v_mul_f64 v[114:115], v[102:103], s[36:37]
	;; [unrolled: 1-line block ×3, first 2 shown]
	v_add_f64 v[6:7], v[106:107], v[6:7]
	v_add_f64 v[106:107], v[42:43], -v[30:31]
	v_mul_f64 v[144:145], v[102:103], s[28:29]
	s_mov_b32 s29, 0x3fcea1e5
	s_mov_b32 s28, s34
	v_add_f64 v[4:5], v[46:47], v[4:5]
	v_add_f64 v[46:47], v[116:117], v[50:51]
	;; [unrolled: 1-line block ×3, first 2 shown]
	v_fma_f64 v[54:55], v[22:23], s[6:7], -v[148:149]
	v_fma_f64 v[116:117], v[26:27], s[16:17], -v[108:109]
	;; [unrolled: 1-line block ×4, first 2 shown]
	v_mul_f64 v[146:147], v[102:103], s[28:29]
	v_add_f64 v[42:43], v[32:33], v[44:45]
	v_mul_f64 v[120:121], v[106:107], s[26:27]
	v_mul_f64 v[122:123], v[106:107], s[18:19]
	v_add_f64 v[54:55], v[54:55], v[110:111]
	v_add_f64 v[4:5], v[116:117], v[4:5]
	;; [unrolled: 1-line block ×3, first 2 shown]
	v_fma_f64 v[30:31], v[26:27], s[4:5], -v[144:145]
	v_add_f64 v[46:47], v[124:125], v[46:47]
	v_fma_f64 v[110:111], v[26:27], s[30:31], -v[146:147]
	v_fma_f64 v[116:117], v[42:43], s[24:25], -v[120:121]
	;; [unrolled: 1-line block ×3, first 2 shown]
	v_mul_f64 v[132:133], v[106:107], s[14:15]
	v_mul_f64 v[136:137], v[106:107], s[28:29]
	;; [unrolled: 1-line block ×3, first 2 shown]
	v_add_f64 v[34:35], v[38:39], -v[34:35]
	s_mov_b32 s15, 0x3fea55e2
	v_add_f64 v[50:51], v[30:31], v[50:51]
	v_add_f64 v[54:55], v[110:111], v[54:55]
	;; [unrolled: 1-line block ×4, first 2 shown]
	v_fma_f64 v[6:7], v[42:43], s[6:7], -v[132:133]
	v_fma_f64 v[152:153], v[42:43], s[30:31], -v[136:137]
	;; [unrolled: 1-line block ×3, first 2 shown]
	v_add_f64 v[30:31], v[36:37], v[40:41]
	v_mul_f64 v[38:39], v[34:35], s[34:35]
	v_mul_f64 v[110:111], v[34:35], s[22:23]
	;; [unrolled: 1-line block ×5, first 2 shown]
	v_add_f64 v[46:47], v[6:7], v[46:47]
	v_add_f64 v[152:153], v[152:153], v[50:51]
	;; [unrolled: 1-line block ×3, first 2 shown]
	v_fma_f64 v[6:7], v[30:31], s[30:31], -v[38:39]
	v_fma_f64 v[50:51], v[30:31], s[20:21], -v[110:111]
	;; [unrolled: 1-line block ×5, first 2 shown]
	s_waitcnt lgkmcnt(0)
	s_barrier
	v_add_f64 v[6:7], v[6:7], v[4:5]
	v_add_f64 v[4:5], v[50:51], v[150:151]
	;; [unrolled: 1-line block ×5, first 2 shown]
	s_and_saveexec_b64 s[28:29], s[0:1]
	s_cbranch_execz .LBB0_17
; %bb.16:
	v_add_f64 v[20:21], v[20:21], v[8:9]
	v_mul_f64 v[150:151], v[10:11], s[20:21]
	v_mul_f64 v[152:153], v[10:11], s[6:7]
	;; [unrolled: 1-line block ×7, first 2 shown]
	v_add_f64 v[20:21], v[56:57], v[20:21]
	v_mul_f64 v[56:57], v[14:15], s[30:31]
	v_mul_f64 v[166:167], v[14:15], s[4:5]
	;; [unrolled: 1-line block ×3, first 2 shown]
	v_add_f64 v[18:19], v[150:151], v[18:19]
	v_add_f64 v[84:85], v[152:153], v[84:85]
	v_mul_f64 v[164:165], v[14:15], s[24:25]
	v_mul_f64 v[170:171], v[22:23], s[30:31]
	v_add_f64 v[20:21], v[52:53], v[20:21]
	v_mul_f64 v[172:173], v[22:23], s[16:17]
	v_mul_f64 v[52:53], v[22:23], s[6:7]
	;; [unrolled: 1-line block ×3, first 2 shown]
	v_add_f64 v[18:19], v[8:9], v[18:19]
	v_add_f64 v[84:85], v[8:9], v[84:85]
	v_mul_f64 v[174:175], v[22:23], s[20:21]
	v_mul_f64 v[168:169], v[22:23], s[4:5]
	v_add_f64 v[20:21], v[48:49], v[20:21]
	v_mul_f64 v[140:141], v[140:141], s[26:27]
	v_add_f64 v[52:53], v[52:53], v[148:149]
	v_mul_f64 v[182:183], v[26:27], s[4:5]
	v_mul_f64 v[176:177], v[26:27], s[16:17]
	;; [unrolled: 1-line block ×5, first 2 shown]
	v_add_f64 v[20:21], v[44:45], v[20:21]
	v_mul_f64 v[186:187], v[42:43], s[24:25]
	v_mul_f64 v[48:49], v[42:43], s[4:5]
	;; [unrolled: 1-line block ×7, first 2 shown]
	v_add_f64 v[20:21], v[40:41], v[20:21]
	v_add_f64 v[40:41], v[154:155], v[88:89]
	;; [unrolled: 1-line block ×4, first 2 shown]
	v_fma_f64 v[92:93], v[10:11], s[30:31], v[86:87]
	v_fma_f64 v[10:11], v[10:11], s[30:31], -v[86:87]
	v_add_f64 v[86:87], v[160:161], v[94:95]
	v_add_f64 v[94:95], v[162:163], v[96:97]
	;; [unrolled: 1-line block ×8, first 2 shown]
	v_fma_f64 v[100:101], v[14:15], s[20:21], v[98:99]
	v_fma_f64 v[14:15], v[14:15], s[20:21], -v[98:99]
	v_add_f64 v[20:21], v[32:33], v[20:21]
	v_add_f64 v[104:105], v[170:171], v[130:131]
	;; [unrolled: 1-line block ×23, first 2 shown]
	v_mul_f64 v[36:37], v[102:103], s[14:15]
	v_add_f64 v[16:17], v[16:17], v[20:21]
	v_add_f64 v[20:21], v[52:53], v[24:25]
	v_fma_f64 v[24:25], v[22:23], s[24:25], v[140:141]
	v_fma_f64 v[22:23], v[22:23], s[24:25], -v[140:141]
	v_add_f64 v[32:33], v[112:113], v[40:41]
	v_add_f64 v[40:41], v[176:177], v[108:109]
	;; [unrolled: 1-line block ×3, first 2 shown]
	v_mul_f64 v[198:199], v[30:31], s[24:25]
	v_add_f64 v[18:19], v[56:57], v[18:19]
	v_mul_f64 v[44:45], v[30:31], s[6:7]
	v_add_f64 v[24:25], v[24:25], v[28:29]
	v_add_f64 v[8:9], v[22:23], v[8:9]
	v_fma_f64 v[22:23], v[26:27], s[6:7], v[36:37]
	v_add_f64 v[28:29], v[84:85], v[32:33]
	v_fma_f64 v[26:27], v[26:27], s[6:7], -v[36:37]
	v_mul_f64 v[32:33], v[106:107], s[10:11]
	v_add_f64 v[10:11], v[40:41], v[10:11]
	v_add_f64 v[36:37], v[48:49], v[122:123]
	;; [unrolled: 1-line block ×7, first 2 shown]
	v_fma_f64 v[26:27], v[42:43], s[16:17], v[32:33]
	v_add_f64 v[40:41], v[188:189], v[132:133]
	v_fma_f64 v[32:33], v[42:43], s[16:17], -v[32:33]
	v_mul_f64 v[200:201], v[30:31], s[16:17]
	v_add_f64 v[20:21], v[86:87], v[20:21]
	v_add_f64 v[52:53], v[192:193], v[138:139]
	;; [unrolled: 1-line block ×4, first 2 shown]
	v_mul_f64 v[28:29], v[34:35], s[18:19]
	v_add_f64 v[22:23], v[26:27], v[22:23]
	v_add_f64 v[26:27], v[194:195], v[38:39]
	;; [unrolled: 1-line block ×10, first 2 shown]
	v_fma_f64 v[40:41], v[30:31], s[4:5], v[28:29]
	v_fma_f64 v[28:29], v[30:31], s[4:5], -v[28:29]
	v_add_f64 v[12:13], v[12:13], v[16:17]
	v_add_f64 v[10:11], v[26:27], v[10:11]
	;; [unrolled: 1-line block ×8, first 2 shown]
	s_movk_i32 s0, 0x60
	v_mad_u32_u24 v24, v74, s0, v75
	ds_write2_b64 v24, v[12:13], v[10:11] offset1:1
	ds_write2_b64 v24, v[14:15], v[16:17] offset0:2 offset1:3
	ds_write2_b64 v24, v[18:19], v[20:21] offset0:4 offset1:5
	;; [unrolled: 1-line block ×5, first 2 shown]
	ds_write_b64 v24, v[6:7] offset:96
.LBB0_17:
	s_or_b64 exec, exec, s[28:29]
	v_add_u32_e32 v8, 0x1800, v75
	s_waitcnt lgkmcnt(0)
	s_barrier
	ds_read2_b64 v[10:13], v8 offset0:51 offset1:233
	v_add_u32_e32 v8, 0xa00, v75
	ds_read2_b64 v[26:29], v8 offset0:44 offset1:226
	v_add_u32_e32 v8, 0x2400, v75
	ds_read2_b64 v[22:25], v75 offset1:182
	ds_read2_b64 v[14:17], v8 offset0:31 offset1:213
	s_and_saveexec_b64 s[0:1], s[2:3]
	s_cbranch_execz .LBB0_19
; %bb.18:
	ds_read_b64 v[46:47], v75 offset:5824
	ds_read_b64 v[54:55], v75 offset:12376
.LBB0_19:
	s_or_b64 exec, exec, s[0:1]
	s_movk_i32 s0, 0x4f
	v_mul_lo_u16_sdwa v9, v74, s0 dst_sel:DWORD dst_unused:UNUSED_PAD src0_sel:BYTE_0 src1_sel:DWORD
	v_lshrrev_b16_e32 v9, 10, v9
	v_mul_lo_u16_e32 v18, 13, v9
	v_add_u32_e32 v85, 0xb6, v74
	v_sub_u16_e32 v49, v74, v18
	v_mov_b32_e32 v18, 4
	s_movk_i32 s0, 0x4ec5
	v_lshlrev_b32_sdwa v34, v18, v49 dst_sel:DWORD dst_unused:UNUSED_PAD src0_sel:DWORD src1_sel:BYTE_0
	v_mul_u32_u24_sdwa v18, v85, s0 dst_sel:DWORD dst_unused:UNUSED_PAD src0_sel:WORD_0 src1_sel:DWORD
	v_lshrrev_b32_e32 v48, 18, v18
	v_mul_lo_u16_e32 v18, 13, v48
	v_add_u32_e32 v84, 0x16c, v74
	v_sub_u16_e32 v88, v85, v18
	v_lshlrev_b32_e32 v35, 4, v88
	global_load_dwordx4 v[18:21], v34, s[8:9]
	global_load_dwordx4 v[30:33], v35, s[8:9]
	v_mul_u32_u24_sdwa v34, v84, s0 dst_sel:DWORD dst_unused:UNUSED_PAD src0_sel:WORD_0 src1_sel:DWORD
	v_lshrrev_b32_e32 v52, 18, v34
	v_add_u32_e32 v8, 0x222, v74
	v_mul_lo_u16_e32 v34, 13, v52
	v_sub_u16_e32 v89, v84, v34
	v_mul_u32_u24_sdwa v34, v8, s0 dst_sel:DWORD dst_unused:UNUSED_PAD src0_sel:WORD_0 src1_sel:DWORD
	v_lshrrev_b32_e32 v90, 18, v34
	v_mul_lo_u16_e32 v34, 13, v90
	v_sub_u16_e32 v91, v8, v34
	v_lshlrev_b32_e32 v42, 4, v89
	v_lshlrev_b32_e32 v8, 4, v91
	global_load_dwordx4 v[34:37], v42, s[8:9]
	global_load_dwordx4 v[38:41], v8, s[8:9]
	v_add_u32_e32 v8, 0x2d8, v74
	v_mul_u32_u24_sdwa v42, v8, s0 dst_sel:DWORD dst_unused:UNUSED_PAD src0_sel:WORD_0 src1_sel:DWORD
	v_lshrrev_b32_e32 v92, 18, v42
	v_mul_lo_u16_e32 v42, 13, v92
	v_sub_u16_e32 v96, v8, v42
	v_lshlrev_b32_e32 v8, 4, v96
	global_load_dwordx4 v[42:45], v8, s[8:9]
	v_mul_u32_u24_e32 v97, 0xd0, v9
	v_mul_u32_u24_e32 v99, 0xd0, v52
	v_lshlrev_b32_e32 v101, 3, v88
	v_lshlrev_b32_e32 v102, 3, v89
	v_mov_b32_e32 v93, 3
	v_mul_u32_u24_e32 v100, 0xd0, v90
	v_lshlrev_b32_e32 v103, 3, v91
	v_mul_u32_u24_e32 v98, 0xd0, v48
	v_mul_lo_u16_e32 v48, 26, v92
	v_lshlrev_b32_sdwa v49, v93, v49 dst_sel:DWORD dst_unused:UNUSED_PAD src0_sel:DWORD src1_sel:BYTE_0
	v_add3_u32 v49, 0, v97, v49
	s_waitcnt vmcnt(0) lgkmcnt(0)
	s_barrier
	v_mul_f64 v[8:9], v[10:11], v[20:21]
	v_mul_f64 v[52:53], v[12:13], v[32:33]
	v_fma_f64 v[8:9], v[58:59], v[18:19], -v[8:9]
	v_fma_f64 v[52:53], v[60:61], v[30:31], -v[52:53]
	v_mul_f64 v[56:57], v[14:15], v[36:37]
	v_mul_f64 v[86:87], v[16:17], v[40:41]
	v_add_f64 v[90:91], v[66:67], -v[8:9]
	v_add_f64 v[92:93], v[68:69], -v[52:53]
	v_add3_u32 v53, 0, v98, v101
	v_lshlrev_b32_e32 v52, 3, v96
	v_mul_f64 v[88:89], v[54:55], v[44:45]
	v_fma_f64 v[56:57], v[62:63], v[34:35], -v[56:57]
	v_fma_f64 v[86:87], v[64:65], v[38:39], -v[86:87]
	v_fma_f64 v[66:67], v[66:67], 2.0, -v[90:91]
	v_fma_f64 v[68:69], v[68:69], 2.0, -v[92:93]
	v_fma_f64 v[8:9], v[80:81], v[42:43], -v[88:89]
	v_add_f64 v[94:95], v[70:71], -v[56:57]
	v_add_f64 v[86:87], v[72:73], -v[86:87]
	v_add3_u32 v56, 0, v99, v102
	v_add3_u32 v57, 0, v100, v103
	v_add_f64 v[8:9], v[82:83], -v[8:9]
	v_fma_f64 v[70:71], v[70:71], 2.0, -v[94:95]
	v_fma_f64 v[72:73], v[72:73], 2.0, -v[86:87]
	ds_write2_b64 v49, v[66:67], v[90:91] offset1:13
	ds_write2_b64 v53, v[68:69], v[92:93] offset1:13
	;; [unrolled: 1-line block ×4, first 2 shown]
	s_and_saveexec_b64 s[0:1], s[2:3]
	s_cbranch_execz .LBB0_21
; %bb.20:
	v_fma_f64 v[66:67], v[82:83], 2.0, -v[8:9]
	v_lshlrev_b32_e32 v68, 3, v48
	v_add3_u32 v68, 0, v52, v68
	ds_write2_b64 v68, v[66:67], v[8:9] offset1:13
.LBB0_21:
	s_or_b64 exec, exec, s[0:1]
	v_mul_f64 v[20:21], v[58:59], v[20:21]
	v_mul_f64 v[32:33], v[60:61], v[32:33]
	;; [unrolled: 1-line block ×5, first 2 shown]
	s_waitcnt lgkmcnt(0)
	s_barrier
	v_fma_f64 v[10:11], v[10:11], v[18:19], v[20:21]
	v_fma_f64 v[12:13], v[12:13], v[30:31], v[32:33]
	;; [unrolled: 1-line block ×5, first 2 shown]
	v_add_u32_e32 v36, 0xa00, v75
	ds_read2_b64 v[18:21], v36 offset0:44 offset1:226
	v_add_f64 v[37:38], v[22:23], -v[10:11]
	v_add_f64 v[39:40], v[24:25], -v[12:13]
	v_add_f64 v[41:42], v[26:27], -v[14:15]
	v_add_f64 v[43:44], v[28:29], -v[16:17]
	v_add_f64 v[12:13], v[46:47], -v[30:31]
	ds_read2_b64 v[14:17], v75 offset1:182
	v_fma_f64 v[54:55], v[22:23], 2.0, -v[37:38]
	v_fma_f64 v[24:25], v[24:25], 2.0, -v[39:40]
	;; [unrolled: 1-line block ×3, first 2 shown]
	v_add_u32_e32 v22, 0x2000, v75
	v_add_u32_e32 v23, 0x1600, v75
	v_fma_f64 v[58:59], v[28:29], 2.0, -v[43:44]
	ds_read2_b64 v[28:31], v22 offset0:68 offset1:250
	ds_read2_b64 v[32:35], v23 offset0:24 offset1:206
	ds_read_b64 v[10:11], v75 offset:11648
	s_waitcnt lgkmcnt(0)
	s_barrier
	ds_write2_b64 v49, v[54:55], v[37:38] offset1:13
	ds_write2_b64 v53, v[24:25], v[39:40] offset1:13
	;; [unrolled: 1-line block ×4, first 2 shown]
	s_and_saveexec_b64 s[0:1], s[2:3]
	s_cbranch_execz .LBB0_23
; %bb.22:
	v_fma_f64 v[24:25], v[46:47], 2.0, -v[12:13]
	v_lshlrev_b32_e32 v26, 3, v48
	v_add3_u32 v26, 0, v52, v26
	ds_write2_b64 v26, v[24:25], v[12:13] offset1:13
.LBB0_23:
	s_or_b64 exec, exec, s[0:1]
	s_movk_i32 s0, 0x4f
	v_mul_lo_u16_sdwa v24, v74, s0 dst_sel:DWORD dst_unused:UNUSED_PAD src0_sel:BYTE_0 src1_sel:DWORD
	v_lshrrev_b16_e32 v48, 11, v24
	v_mul_lo_u16_e32 v24, 26, v48
	v_sub_u16_e32 v49, v74, v24
	v_mov_b32_e32 v24, 5
	v_lshlrev_b32_sdwa v24, v24, v49 dst_sel:DWORD dst_unused:UNUSED_PAD src0_sel:DWORD src1_sel:BYTE_0
	s_movk_i32 s0, 0x4ec5
	s_waitcnt lgkmcnt(0)
	s_barrier
	global_load_dwordx4 v[44:47], v24, s[8:9] offset:224
	global_load_dwordx4 v[52:55], v24, s[8:9] offset:208
	v_mul_u32_u24_sdwa v24, v85, s0 dst_sel:DWORD dst_unused:UNUSED_PAD src0_sel:WORD_0 src1_sel:DWORD
	v_lshrrev_b32_e32 v56, 19, v24
	v_mul_lo_u16_e32 v24, 26, v56
	v_sub_u16_e32 v57, v85, v24
	v_lshlrev_b32_e32 v24, 5, v57
	global_load_dwordx4 v[66:69], v24, s[8:9] offset:224
	global_load_dwordx4 v[86:89], v24, s[8:9] offset:208
	v_mul_u32_u24_sdwa v24, v84, s0 dst_sel:DWORD dst_unused:UNUSED_PAD src0_sel:WORD_0 src1_sel:DWORD
	v_lshrrev_b32_e32 v58, 19, v24
	v_mul_lo_u16_e32 v24, 26, v58
	v_sub_u16_e32 v59, v84, v24
	v_lshlrev_b32_e32 v24, 5, v59
	global_load_dwordx4 v[90:93], v24, s[8:9] offset:208
	global_load_dwordx4 v[94:97], v24, s[8:9] offset:224
	ds_read2_b64 v[40:43], v75 offset1:182
	ds_read2_b64 v[24:27], v36 offset0:44 offset1:226
	ds_read2_b64 v[36:39], v22 offset0:68 offset1:250
	;; [unrolled: 1-line block ×3, first 2 shown]
	ds_read_b64 v[22:23], v75 offset:11648
	v_mov_b32_e32 v60, 3
	v_mul_u32_u24_e32 v48, 0x270, v48
	v_lshlrev_b32_sdwa v49, v60, v49 dst_sel:DWORD dst_unused:UNUSED_PAD src0_sel:DWORD src1_sel:BYTE_0
	v_mul_u32_u24_e32 v83, 0x270, v56
	v_lshlrev_b32_e32 v105, 3, v57
	v_add3_u32 v80, 0, v48, v49
	v_mul_u32_u24_e32 v104, 0x270, v58
	v_lshlrev_b32_e32 v106, 3, v59
	s_mov_b32 s2, 0xe8584caa
	s_mov_b32 s3, 0x3febb67a
	;; [unrolled: 1-line block ×4, first 2 shown]
	v_add_u32_e32 v72, 0xe00, v75
	v_add_u32_e32 v73, 0x1d00, v75
	s_waitcnt vmcnt(0) lgkmcnt(0)
	s_barrier
	v_cmp_gt_u32_e64 s[0:1], 52, v74
	v_mul_f64 v[56:57], v[36:37], v[46:47]
	v_mul_f64 v[48:49], v[26:27], v[54:55]
	;; [unrolled: 1-line block ×8, first 2 shown]
	v_fma_f64 v[62:63], v[20:21], v[52:53], -v[48:49]
	v_fma_f64 v[68:69], v[28:29], v[44:45], -v[56:57]
	v_mul_f64 v[88:89], v[100:101], v[92:93]
	v_mul_f64 v[102:103], v[22:23], v[96:97]
	v_fma_f64 v[60:61], v[30:31], v[66:67], -v[60:61]
	v_fma_f64 v[58:59], v[32:33], v[86:87], -v[58:59]
	v_mul_f64 v[92:93], v[34:35], v[92:93]
	v_mul_f64 v[96:97], v[10:11], v[96:97]
	v_fma_f64 v[70:71], v[26:27], v[52:53], v[54:55]
	v_fma_f64 v[26:27], v[36:37], v[44:45], v[46:47]
	v_fma_f64 v[54:55], v[34:35], v[90:91], -v[88:89]
	v_fma_f64 v[56:57], v[10:11], v[94:95], -v[102:103]
	v_add_f64 v[10:11], v[62:63], v[68:69]
	v_fma_f64 v[64:65], v[98:99], v[86:87], v[64:65]
	v_fma_f64 v[44:45], v[38:39], v[66:67], v[81:82]
	v_add_f64 v[20:21], v[58:59], v[60:61]
	v_fma_f64 v[66:67], v[100:101], v[90:91], v[92:93]
	v_fma_f64 v[46:47], v[22:23], v[94:95], v[96:97]
	v_add_f64 v[22:23], v[14:15], v[62:63]
	v_add_f64 v[28:29], v[54:55], v[56:57]
	v_add_f64 v[30:31], v[70:71], -v[26:27]
	v_fma_f64 v[10:11], v[10:11], -0.5, v[14:15]
	v_add_f64 v[32:33], v[16:17], v[58:59]
	v_add_f64 v[14:15], v[64:65], -v[44:45]
	v_fma_f64 v[16:17], v[20:21], -0.5, v[16:17]
	;; [unrolled: 3-line block ×3, first 2 shown]
	v_add_f64 v[28:29], v[22:23], v[68:69]
	v_fma_f64 v[38:39], v[30:31], s[2:3], v[10:11]
	v_fma_f64 v[10:11], v[30:31], s[4:5], v[10:11]
	v_add_f64 v[32:33], v[32:33], v[60:61]
	v_fma_f64 v[30:31], v[14:15], s[2:3], v[16:17]
	v_fma_f64 v[16:17], v[14:15], s[4:5], v[16:17]
	;; [unrolled: 3-line block ×3, first 2 shown]
	v_add3_u32 v15, 0, v83, v105
	v_add3_u32 v14, 0, v104, v106
	ds_write2_b64 v80, v[28:29], v[38:39] offset1:26
	ds_write_b64 v80, v[10:11] offset:416
	ds_write2_b64 v15, v[32:33], v[30:31] offset1:26
	ds_write_b64 v15, v[16:17] offset:416
	;; [unrolled: 2-line block ×3, first 2 shown]
	s_waitcnt lgkmcnt(0)
	s_barrier
	ds_read2_b64 v[28:31], v75 offset1:234
	ds_read2_b64 v[36:39], v72 offset0:20 offset1:254
	ds_read2_b64 v[32:35], v73 offset0:8 offset1:242
	ds_read_b64 v[52:53], v75 offset:11232
                                        ; implicit-def: $vgpr48_vgpr49
	s_and_saveexec_b64 s[6:7], s[0:1]
	s_cbranch_execz .LBB0_25
; %bb.24:
	v_add_u32_e32 v0, 0x580, v75
	ds_read2_b64 v[20:23], v0 offset0:6 offset1:240
	v_add_u32_e32 v8, 0x1400, v75
	v_add_u32_e32 v0, 0x2280, v75
	ds_read2_b64 v[0:3], v0 offset0:14 offset1:248
	ds_read2_b64 v[8:11], v8 offset0:10 offset1:244
	ds_read_b64 v[48:49], v75 offset:12688
	s_waitcnt lgkmcnt(1)
	v_mov_b32_e32 v79, v11
	v_mov_b32_e32 v78, v10
.LBB0_25:
	s_or_b64 exec, exec, s[6:7]
	v_add_f64 v[10:11], v[70:71], v[26:27]
	v_add_f64 v[18:19], v[64:65], v[44:45]
	v_add_f64 v[62:63], v[62:63], -v[68:69]
	v_add_f64 v[68:69], v[66:67], v[46:47]
	v_add_f64 v[16:17], v[40:41], v[70:71]
	v_add_f64 v[64:65], v[42:43], v[64:65]
	v_add_f64 v[58:59], v[58:59], -v[60:61]
	v_add_f64 v[60:61], v[24:25], v[66:67]
	v_fma_f64 v[10:11], v[10:11], -0.5, v[40:41]
	v_fma_f64 v[18:19], v[18:19], -0.5, v[42:43]
	v_add_f64 v[40:41], v[54:55], -v[56:57]
	v_fma_f64 v[24:25], v[68:69], -0.5, v[24:25]
	v_add_f64 v[26:27], v[16:17], v[26:27]
	v_add_f64 v[42:43], v[64:65], v[44:45]
	s_waitcnt lgkmcnt(0)
	v_add_f64 v[44:45], v[60:61], v[46:47]
	v_fma_f64 v[46:47], v[62:63], s[4:5], v[10:11]
	v_fma_f64 v[10:11], v[62:63], s[2:3], v[10:11]
	;; [unrolled: 1-line block ×6, first 2 shown]
	s_barrier
	ds_write2_b64 v80, v[26:27], v[46:47] offset1:26
	ds_write_b64 v80, v[10:11] offset:416
	ds_write2_b64 v15, v[42:43], v[54:55] offset1:26
	ds_write_b64 v15, v[56:57] offset:416
	;; [unrolled: 2-line block ×3, first 2 shown]
	s_waitcnt lgkmcnt(0)
	s_barrier
	ds_read2_b64 v[24:27], v75 offset1:234
	ds_read2_b64 v[44:47], v72 offset0:20 offset1:254
	ds_read2_b64 v[40:43], v73 offset0:8 offset1:242
	ds_read_b64 v[54:55], v75 offset:11232
                                        ; implicit-def: $vgpr10_vgpr11
	s_and_saveexec_b64 s[2:3], s[0:1]
	s_cbranch_execz .LBB0_27
; %bb.26:
	v_add_u32_e32 v4, 0x580, v75
	ds_read2_b64 v[16:19], v4 offset0:6 offset1:240
	v_add_u32_e32 v10, 0x1400, v75
	v_add_u32_e32 v4, 0x2280, v75
	ds_read2_b64 v[4:7], v4 offset0:14 offset1:248
	ds_read2_b64 v[12:15], v10 offset0:10 offset1:244
	ds_read_b64 v[10:11], v75 offset:12688
	s_waitcnt lgkmcnt(1)
	v_mov_b32_e32 v51, v15
	v_mov_b32_e32 v50, v14
.LBB0_27:
	s_or_b64 exec, exec, s[2:3]
	v_lshrrev_b16_e32 v56, 1, v85
	v_lshrrev_b16_e32 v14, 1, v74
	v_mul_u32_u24_e32 v56, 0x6907, v56
	v_and_b32_e32 v14, 0x7f, v14
	v_lshrrev_b32_e32 v56, 20, v56
	v_mul_lo_u16_e32 v14, 0xd3, v14
	v_mul_lo_u16_e32 v56, 0x4e, v56
	v_lshrrev_b16_e32 v14, 13, v14
	v_sub_u16_e32 v83, v85, v56
	v_mul_lo_u16_e32 v15, 0x4e, v14
	v_mul_u32_u24_e32 v56, 6, v83
	v_lshlrev_b32_e32 v64, 4, v56
	v_sub_u16_e32 v15, v74, v15
	v_mov_b32_e32 v56, 6
	v_mul_u32_u24_sdwa v56, v15, v56 dst_sel:DWORD dst_unused:UNUSED_PAD src0_sel:BYTE_0 src1_sel:DWORD
	v_lshlrev_b32_e32 v65, 4, v56
	global_load_dwordx4 v[86:89], v64, s[8:9] offset:1056
	global_load_dwordx4 v[90:93], v64, s[8:9] offset:1040
	;; [unrolled: 1-line block ×12, first 2 shown]
	v_mov_b32_e32 v64, 3
	v_mul_u32_u24_e32 v14, 0x1110, v14
	v_lshlrev_b32_sdwa v15, v64, v15 dst_sel:DWORD dst_unused:UNUSED_PAD src0_sel:DWORD src1_sel:BYTE_0
	v_add3_u32 v80, 0, v14, v15
	s_mov_b32 s4, 0x37e14327
	s_mov_b32 s10, 0xe976ee23
	;; [unrolled: 1-line block ×20, first 2 shown]
	s_waitcnt vmcnt(0) lgkmcnt(0)
	s_barrier
	v_mul_f64 v[14:15], v[26:27], v[58:59]
	v_mul_f64 v[58:59], v[30:31], v[58:59]
	v_mul_f64 v[64:65], v[44:45], v[62:63]
	v_mul_f64 v[126:127], v[40:41], v[72:73]
	v_mul_f64 v[128:129], v[32:33], v[72:73]
	v_mul_f64 v[72:73], v[54:55], v[104:105]
	v_mul_f64 v[130:131], v[42:43], v[108:109]
	v_mul_f64 v[62:63], v[36:37], v[62:63]
	v_mul_f64 v[124:125], v[46:47], v[68:69]
	v_mul_f64 v[68:69], v[38:39], v[68:69]
	v_mul_f64 v[108:109], v[34:35], v[108:109]
	v_mul_f64 v[104:105], v[52:53], v[104:105]
	v_fma_f64 v[14:15], v[30:31], v[56:57], -v[14:15]
	v_fma_f64 v[58:59], v[26:27], v[56:57], v[58:59]
	v_fma_f64 v[56:57], v[36:37], v[60:61], -v[64:65]
	v_fma_f64 v[52:53], v[52:53], v[102:103], -v[72:73]
	;; [unrolled: 1-line block ×3, first 2 shown]
	v_fma_f64 v[60:61], v[44:45], v[60:61], v[62:63]
	v_fma_f64 v[62:63], v[38:39], v[66:67], -v[124:125]
	v_fma_f64 v[66:67], v[46:47], v[66:67], v[68:69]
	v_fma_f64 v[72:73], v[42:43], v[106:107], v[108:109]
	v_fma_f64 v[68:69], v[32:33], v[70:71], -v[126:127]
	v_fma_f64 v[70:71], v[40:41], v[70:71], v[128:129]
	v_fma_f64 v[54:55], v[54:55], v[102:103], v[104:105]
	v_add_f64 v[32:33], v[14:15], v[52:53]
	v_add_f64 v[34:35], v[56:57], v[64:65]
	v_mul_f64 v[81:82], v[18:19], v[92:93]
	v_mul_f64 v[92:93], v[22:23], v[92:93]
	;; [unrolled: 1-line block ×4, first 2 shown]
	v_add_f64 v[30:31], v[60:61], -v[72:73]
	v_add_f64 v[36:37], v[62:63], v[68:69]
	v_add_f64 v[42:43], v[70:71], -v[66:67]
	v_add_f64 v[46:47], v[58:59], -v[54:55]
	v_add_f64 v[96:97], v[34:35], v[32:33]
	v_mul_f64 v[118:119], v[12:13], v[88:89]
	v_fma_f64 v[22:23], v[22:23], v[90:91], -v[81:82]
	v_fma_f64 v[26:27], v[18:19], v[90:91], v[92:93]
	v_mul_f64 v[88:89], v[8:9], v[88:89]
	v_add_f64 v[81:82], v[32:33], -v[36:37]
	v_add_f64 v[106:107], v[42:43], -v[30:31]
	;; [unrolled: 1-line block ×3, first 2 shown]
	v_add_f64 v[90:91], v[36:37], v[96:97]
	v_add_f64 v[36:37], v[36:37], -v[34:35]
	v_add_f64 v[92:93], v[42:43], v[30:31]
	v_add_f64 v[42:43], v[46:47], -v[42:43]
	v_fma_f64 v[30:31], v[8:9], v[86:87], -v[118:119]
	v_mul_f64 v[81:82], v[81:82], s[4:5]
	v_mul_f64 v[96:97], v[106:107], s[10:11]
	;; [unrolled: 1-line block ×3, first 2 shown]
	v_add_f64 v[106:107], v[28:29], v[90:91]
	v_add_f64 v[28:29], v[34:35], -v[32:33]
	v_mul_f64 v[32:33], v[36:37], s[2:3]
	v_add_f64 v[34:35], v[92:93], v[46:47]
	v_mul_f64 v[120:121], v[50:51], v[100:101]
	v_fma_f64 v[36:37], v[36:37], s[2:3], v[81:82]
	v_fma_f64 v[46:47], v[42:43], s[20:21], v[96:97]
	v_fma_f64 v[8:9], v[42:43], s[24:25], -v[8:9]
	v_fma_f64 v[42:43], v[90:91], s[14:15], v[106:107]
	v_fma_f64 v[18:19], v[18:19], s[6:7], -v[96:97]
	v_fma_f64 v[81:82], v[28:29], s[18:19], -v[81:82]
	;; [unrolled: 1-line block ×3, first 2 shown]
	v_mul_f64 v[100:101], v[78:79], v[100:101]
	v_mul_f64 v[40:41], v[6:7], v[112:113]
	;; [unrolled: 1-line block ×5, first 2 shown]
	v_fma_f64 v[32:33], v[12:13], v[86:87], v[88:89]
	v_fma_f64 v[12:13], v[34:35], s[22:23], v[46:47]
	v_add_f64 v[46:47], v[36:37], v[42:43]
	v_fma_f64 v[28:29], v[78:79], v[98:99], -v[120:121]
	v_fma_f64 v[18:19], v[34:35], s[22:23], v[18:19]
	v_fma_f64 v[8:9], v[34:35], s[22:23], v[8:9]
	v_add_f64 v[78:79], v[81:82], v[42:43]
	v_add_f64 v[81:82], v[90:91], v[42:43]
	v_fma_f64 v[34:35], v[50:51], v[98:99], v[100:101]
	v_fma_f64 v[36:37], v[0:1], v[94:95], -v[122:123]
	v_fma_f64 v[38:39], v[4:5], v[94:95], v[38:39]
	v_fma_f64 v[40:41], v[2:3], v[110:111], -v[40:41]
	v_fma_f64 v[42:43], v[6:7], v[110:111], v[44:45]
	v_add_f64 v[0:1], v[12:13], v[46:47]
	v_add_f64 v[12:13], v[46:47], -v[12:13]
	v_fma_f64 v[44:45], v[48:49], v[114:115], -v[102:103]
	v_fma_f64 v[46:47], v[10:11], v[114:115], v[104:105]
	v_add_f64 v[2:3], v[8:9], v[78:79]
	v_add_f64 v[4:5], v[81:82], -v[18:19]
	v_add_f64 v[6:7], v[18:19], v[81:82]
	v_add_f64 v[8:9], v[78:79], -v[8:9]
	v_add_u32_e32 v49, 0x800, v80
	v_lshl_add_u32 v48, v83, 3, 0
	ds_write2_b64 v80, v[106:107], v[0:1] offset1:78
	ds_write2_b64 v80, v[2:3], v[4:5] offset0:156 offset1:234
	ds_write2_b64 v49, v[6:7], v[8:9] offset0:56 offset1:134
	ds_write_b64 v80, v[12:13] offset:3744
	s_and_saveexec_b64 s[26:27], s[0:1]
	s_cbranch_execz .LBB0_29
; %bb.28:
	v_add_f64 v[0:1], v[30:31], v[40:41]
	v_add_f64 v[2:3], v[22:23], v[44:45]
	v_add_f64 v[4:5], v[38:39], -v[34:35]
	v_add_f64 v[6:7], v[32:33], -v[42:43]
	v_add_f64 v[8:9], v[28:29], v[36:37]
	v_add_f64 v[10:11], v[26:27], -v[46:47]
	v_add_f64 v[12:13], v[0:1], v[2:3]
	v_add_f64 v[18:19], v[4:5], -v[6:7]
	v_add_f64 v[50:51], v[2:3], -v[8:9]
	;; [unrolled: 1-line block ×4, first 2 shown]
	v_add_f64 v[6:7], v[4:5], v[6:7]
	v_add_f64 v[4:5], v[10:11], -v[4:5]
	v_add_f64 v[8:9], v[8:9], v[12:13]
	v_add_f64 v[0:1], v[0:1], -v[2:3]
	v_mul_f64 v[2:3], v[18:19], s[10:11]
	v_mul_f64 v[12:13], v[50:51], s[4:5]
	;; [unrolled: 1-line block ×4, first 2 shown]
	v_add_f64 v[6:7], v[6:7], v[10:11]
	v_add_f64 v[20:21], v[20:21], v[8:9]
	v_fma_f64 v[10:11], v[4:5], s[20:21], v[2:3]
	v_fma_f64 v[86:87], v[0:1], s[18:19], -v[12:13]
	v_fma_f64 v[4:5], v[4:5], s[24:25], -v[18:19]
	;; [unrolled: 1-line block ×4, first 2 shown]
	v_fma_f64 v[12:13], v[81:82], s[2:3], v[12:13]
	v_fma_f64 v[8:9], v[8:9], s[14:15], v[20:21]
	;; [unrolled: 1-line block ×5, first 2 shown]
	v_add_f64 v[6:7], v[86:87], v[8:9]
	v_add_f64 v[0:1], v[0:1], v[8:9]
	;; [unrolled: 1-line block ×3, first 2 shown]
	v_add_f64 v[12:13], v[6:7], -v[4:5]
	v_add_f64 v[18:19], v[0:1], -v[2:3]
	v_add_f64 v[50:51], v[10:11], v[8:9]
	v_add_f64 v[4:5], v[4:5], v[6:7]
	;; [unrolled: 1-line block ×3, first 2 shown]
	v_add_f64 v[2:3], v[8:9], -v[10:11]
	v_add_u32_e32 v6, 0x2000, v48
	v_add_u32_e32 v7, 0x2400, v48
	;; [unrolled: 1-line block ×3, first 2 shown]
	ds_write2_b64 v6, v[20:21], v[50:51] offset0:68 offset1:146
	ds_write2_b64 v7, v[4:5], v[18:19] offset0:96 offset1:174
	;; [unrolled: 1-line block ×3, first 2 shown]
	ds_write_b64 v48, v[2:3] offset:12480
.LBB0_29:
	s_or_b64 exec, exec, s[26:27]
	v_add_f64 v[0:1], v[58:59], v[54:55]
	v_add_f64 v[2:3], v[60:61], v[72:73]
	v_add_f64 v[4:5], v[56:57], -v[64:65]
	v_add_f64 v[6:7], v[66:67], v[70:71]
	v_add_f64 v[8:9], v[68:69], -v[62:63]
	v_add_f64 v[10:11], v[14:15], -v[52:53]
	v_add_u32_e32 v58, 0xa00, v75
	s_waitcnt lgkmcnt(0)
	s_barrier
	v_add_f64 v[12:13], v[2:3], v[0:1]
	v_add_f64 v[14:15], v[0:1], -v[6:7]
	v_add_f64 v[18:19], v[8:9], -v[4:5]
	;; [unrolled: 1-line block ×3, first 2 shown]
	v_add_f64 v[4:5], v[8:9], v[4:5]
	v_add_f64 v[8:9], v[10:11], -v[8:9]
	v_add_f64 v[0:1], v[2:3], -v[0:1]
	v_add_f64 v[12:13], v[6:7], v[12:13]
	v_add_f64 v[6:7], v[6:7], -v[2:3]
	v_mul_f64 v[14:15], v[14:15], s[4:5]
	v_mul_f64 v[18:19], v[18:19], s[10:11]
	;; [unrolled: 1-line block ×3, first 2 shown]
	v_add_f64 v[4:5], v[4:5], v[10:11]
	v_add_u32_e32 v62, 0x1600, v75
	v_add_f64 v[24:25], v[24:25], v[12:13]
	v_mul_f64 v[2:3], v[6:7], s[2:3]
	v_fma_f64 v[6:7], v[6:7], s[2:3], v[14:15]
	v_fma_f64 v[10:11], v[8:9], s[20:21], v[18:19]
	v_fma_f64 v[18:19], v[20:21], s[6:7], -v[18:19]
	v_fma_f64 v[8:9], v[8:9], s[24:25], -v[50:51]
	;; [unrolled: 1-line block ×3, first 2 shown]
	v_fma_f64 v[12:13], v[12:13], s[14:15], v[24:25]
	v_fma_f64 v[20:21], v[0:1], s[16:17], -v[2:3]
	ds_read2_b64 v[0:3], v75 offset1:182
	v_fma_f64 v[50:51], v[4:5], s[22:23], v[10:11]
	v_fma_f64 v[52:53], v[4:5], s[22:23], v[18:19]
	;; [unrolled: 1-line block ×3, first 2 shown]
	v_add_u32_e32 v8, 0x2000, v75
	v_add_f64 v[56:57], v[6:7], v[12:13]
	v_add_f64 v[14:15], v[14:15], v[12:13]
	;; [unrolled: 1-line block ×3, first 2 shown]
	ds_read_b64 v[18:19], v75 offset:11648
	ds_read2_b64 v[4:7], v58 offset0:44 offset1:226
	ds_read2_b64 v[8:11], v8 offset0:68 offset1:250
	v_add_f64 v[20:21], v[56:57], -v[50:51]
	v_add_f64 v[58:59], v[14:15], -v[54:55]
	v_add_f64 v[60:61], v[52:53], v[12:13]
	v_add_f64 v[52:53], v[12:13], -v[52:53]
	v_add_f64 v[54:55], v[54:55], v[14:15]
	v_add_f64 v[50:51], v[50:51], v[56:57]
	ds_read2_b64 v[12:15], v62 offset0:24 offset1:206
	s_waitcnt lgkmcnt(0)
	s_barrier
	ds_write2_b64 v80, v[24:25], v[20:21] offset1:78
	ds_write2_b64 v80, v[58:59], v[60:61] offset0:156 offset1:234
	ds_write2_b64 v49, v[52:53], v[54:55] offset0:56 offset1:134
	ds_write_b64 v80, v[50:51] offset:3744
	s_and_saveexec_b64 s[2:3], s[0:1]
	s_cbranch_execz .LBB0_31
; %bb.30:
	v_add_f64 v[20:21], v[26:27], v[46:47]
	v_add_f64 v[24:25], v[32:33], v[42:43]
	v_add_f64 v[26:27], v[30:31], -v[40:41]
	v_add_f64 v[30:31], v[34:35], v[38:39]
	v_add_f64 v[28:29], v[36:37], -v[28:29]
	v_add_f64 v[22:23], v[22:23], -v[44:45]
	s_mov_b32 s4, 0x36b3c0b5
	s_mov_b32 s0, 0x37e14327
	;; [unrolled: 1-line block ×3, first 2 shown]
	v_add_f64 v[32:33], v[24:25], v[20:21]
	s_mov_b32 s1, 0x3fe948f6
	v_add_f64 v[34:35], v[20:21], -v[30:31]
	v_add_f64 v[36:37], v[28:29], v[26:27]
	v_add_f64 v[38:39], v[28:29], -v[26:27]
	v_add_f64 v[26:27], v[26:27], -v[22:23]
	s_mov_b32 s6, 0xe976ee23
	v_add_f64 v[20:21], v[24:25], -v[20:21]
	v_add_f64 v[32:33], v[30:31], v[32:33]
	v_add_f64 v[30:31], v[30:31], -v[24:25]
	v_add_f64 v[24:25], v[22:23], -v[28:29]
	s_mov_b32 s7, 0xbfe11646
	s_mov_b32 s10, 0x429ad128
	v_mul_f64 v[34:35], v[34:35], s[0:1]
	s_mov_b32 s11, 0x3febfeb5
	v_add_f64 v[22:23], v[36:37], v[22:23]
	v_add_f64 v[16:17], v[16:17], v[32:33]
	v_mul_f64 v[28:29], v[30:31], s[4:5]
	v_mul_f64 v[36:37], v[38:39], s[6:7]
	;; [unrolled: 1-line block ×3, first 2 shown]
	s_mov_b32 s1, 0x3fe77f67
	s_mov_b32 s0, 0x5476071b
	v_fma_f64 v[30:31], v[30:31], s[4:5], v[34:35]
	v_fma_f64 v[32:33], v[32:33], s[14:15], v[16:17]
	v_fma_f64 v[28:29], v[20:21], s[0:1], -v[28:29]
	s_mov_b32 s1, 0xbfe77f67
	v_fma_f64 v[20:21], v[20:21], s[0:1], -v[34:35]
	s_mov_b32 s1, 0x3fd5d0dc
	s_mov_b32 s0, 0xb247c609
	v_fma_f64 v[34:35], v[24:25], s[0:1], v[36:37]
	s_mov_b32 s1, 0xbfd5d0dc
	v_fma_f64 v[24:25], v[24:25], s[0:1], -v[38:39]
	v_fma_f64 v[26:27], v[26:27], s[10:11], -v[36:37]
	s_mov_b32 s0, 0x37c3f68c
	s_mov_b32 s1, 0x3fdc38aa
	v_add_f64 v[30:31], v[30:31], v[32:33]
	v_add_f64 v[28:29], v[28:29], v[32:33]
	;; [unrolled: 1-line block ×3, first 2 shown]
	v_fma_f64 v[32:33], v[22:23], s[0:1], v[34:35]
	v_fma_f64 v[24:25], v[22:23], s[0:1], v[24:25]
	;; [unrolled: 1-line block ×3, first 2 shown]
	v_add_f64 v[26:27], v[30:31], -v[32:33]
	v_add_f64 v[34:35], v[20:21], -v[24:25]
	v_add_f64 v[36:37], v[22:23], v[28:29]
	v_add_f64 v[22:23], v[28:29], -v[22:23]
	v_add_f64 v[20:21], v[24:25], v[20:21]
	v_add_f64 v[24:25], v[32:33], v[30:31]
	v_add_u32_e32 v28, 0x2000, v48
	ds_write2_b64 v28, v[16:17], v[26:27] offset0:68 offset1:146
	v_add_u32_e32 v16, 0x2400, v48
	ds_write2_b64 v16, v[34:35], v[36:37] offset0:96 offset1:174
	;; [unrolled: 2-line block ×3, first 2 shown]
	ds_write_b64 v48, v[24:25] offset:12480
.LBB0_31:
	s_or_b64 exec, exec, s[2:3]
	s_waitcnt lgkmcnt(0)
	s_barrier
	s_and_saveexec_b64 s[0:1], vcc
	s_cbranch_execz .LBB0_33
; %bb.32:
	v_lshlrev_b32_e32 v59, 1, v84
	v_mov_b32_e32 v60, 0
	v_lshlrev_b64 v[16:17], 4, v[59:60]
	v_mov_b32_e32 v38, s9
	v_add_co_u32_e32 v20, vcc, s8, v16
	v_addc_co_u32_e32 v21, vcc, v38, v17, vcc
	v_add_co_u32_e32 v16, vcc, 0x2150, v20
	v_addc_co_u32_e32 v17, vcc, 0, v21, vcc
	;; [unrolled: 2-line block ×3, first 2 shown]
	v_lshlrev_b32_e32 v59, 1, v85
	global_load_dwordx4 v[20:23], v[28:29], off offset:336
	global_load_dwordx4 v[24:27], v[16:17], off offset:16
	v_lshlrev_b64 v[16:17], 4, v[59:60]
	s_movk_i32 s0, 0x2150
	v_add_co_u32_e32 v28, vcc, s8, v16
	v_addc_co_u32_e32 v29, vcc, v38, v17, vcc
	v_add_co_u32_e32 v16, vcc, s0, v28
	s_movk_i32 s4, 0x2000
	v_addc_co_u32_e32 v17, vcc, 0, v29, vcc
	v_add_co_u32_e32 v36, vcc, s4, v28
	v_addc_co_u32_e32 v37, vcc, 0, v29, vcc
	v_lshlrev_b32_e32 v59, 1, v74
	global_load_dwordx4 v[28:31], v[36:37], off offset:336
	global_load_dwordx4 v[32:35], v[16:17], off offset:16
	v_lshlrev_b64 v[16:17], 4, v[59:60]
	v_add_u32_e32 v56, 0xa00, v75
	v_add_co_u32_e32 v36, vcc, s8, v16
	v_addc_co_u32_e32 v37, vcc, v38, v17, vcc
	v_add_co_u32_e32 v16, vcc, s0, v36
	v_addc_co_u32_e32 v17, vcc, 0, v37, vcc
	;; [unrolled: 2-line block ×3, first 2 shown]
	global_load_dwordx4 v[36:39], v[44:45], off offset:336
	global_load_dwordx4 v[40:43], v[16:17], off offset:16
	ds_read_b64 v[16:17], v75 offset:11648
	v_add_u32_e32 v44, 0x1600, v75
	v_add_u32_e32 v48, 0x2000, v75
	ds_read2_b64 v[44:47], v44 offset0:24 offset1:206
	ds_read2_b64 v[48:51], v48 offset0:68 offset1:250
	ds_read2_b64 v[52:55], v75 offset1:182
	ds_read2_b64 v[56:59], v56 offset0:44 offset1:226
	s_mov_b32 s0, 0xe8584caa
	s_mov_b32 s1, 0x3febb67a
	;; [unrolled: 1-line block ×4, first 2 shown]
	v_mov_b32_e32 v75, v60
	s_waitcnt vmcnt(5) lgkmcnt(3)
	v_mul_f64 v[65:66], v[46:47], v[22:23]
	s_waitcnt vmcnt(4)
	v_mul_f64 v[67:68], v[16:17], v[26:27]
	v_mul_f64 v[22:23], v[14:15], v[22:23]
	;; [unrolled: 1-line block ×3, first 2 shown]
	v_fma_f64 v[14:15], v[14:15], v[20:21], -v[65:66]
	v_fma_f64 v[18:19], v[18:19], v[24:25], -v[67:68]
	v_fma_f64 v[20:21], v[20:21], v[46:47], v[22:23]
	v_fma_f64 v[16:17], v[24:25], v[16:17], v[26:27]
	s_waitcnt vmcnt(3)
	v_mul_f64 v[61:62], v[44:45], v[30:31]
	s_waitcnt vmcnt(2) lgkmcnt(2)
	v_mul_f64 v[63:64], v[50:51], v[34:35]
	v_mul_f64 v[30:31], v[12:13], v[30:31]
	;; [unrolled: 1-line block ×3, first 2 shown]
	v_fma_f64 v[12:13], v[12:13], v[28:29], -v[61:62]
	v_fma_f64 v[61:62], v[10:11], v[32:33], -v[63:64]
	v_fma_f64 v[10:11], v[28:29], v[44:45], v[30:31]
	v_fma_f64 v[28:29], v[32:33], v[50:51], v[34:35]
	s_waitcnt vmcnt(1) lgkmcnt(0)
	v_mul_f64 v[69:70], v[58:59], v[38:39]
	s_waitcnt vmcnt(0)
	v_mul_f64 v[71:72], v[48:49], v[42:43]
	v_mul_f64 v[38:39], v[6:7], v[38:39]
	;; [unrolled: 1-line block ×3, first 2 shown]
	v_add_f64 v[22:23], v[12:13], -v[61:62]
	v_add_f64 v[30:31], v[12:13], v[61:62]
	v_fma_f64 v[24:25], v[6:7], v[36:37], -v[69:70]
	v_fma_f64 v[32:33], v[8:9], v[40:41], -v[71:72]
	v_fma_f64 v[26:27], v[36:37], v[58:59], v[38:39]
	v_fma_f64 v[34:35], v[40:41], v[48:49], v[42:43]
	v_add_f64 v[6:7], v[10:11], v[28:29]
	v_add_f64 v[8:9], v[10:11], v[54:55]
	v_add_f64 v[36:37], v[10:11], -v[28:29]
	v_add_f64 v[10:11], v[20:21], v[16:17]
	v_add_f64 v[40:41], v[20:21], v[56:57]
	;; [unrolled: 1-line block ×3, first 2 shown]
	v_add_f64 v[12:13], v[14:15], -v[18:19]
	v_add_f64 v[46:47], v[26:27], v[34:35]
	v_add_f64 v[42:43], v[14:15], v[18:19]
	;; [unrolled: 1-line block ×4, first 2 shown]
	v_fma_f64 v[54:55], v[6:7], -0.5, v[54:55]
	v_add_f64 v[6:7], v[28:29], v[8:9]
	v_fma_f64 v[28:29], v[10:11], -0.5, v[56:57]
	v_add_f64 v[48:49], v[26:27], v[52:53]
	v_add_f64 v[10:11], v[16:17], v[40:41]
	v_fma_f64 v[40:41], v[46:47], -0.5, v[52:53]
	v_add_f64 v[46:47], v[0:1], v[24:25]
	v_add_f64 v[44:45], v[24:25], -v[32:33]
	v_fma_f64 v[30:31], v[30:31], -0.5, v[2:3]
	v_fma_f64 v[4:5], v[42:43], -0.5, v[4:5]
	v_add_f64 v[8:9], v[14:15], v[18:19]
	v_fma_f64 v[14:15], v[22:23], s[0:1], v[54:55]
	v_fma_f64 v[2:3], v[22:23], s[2:3], v[54:55]
	;; [unrolled: 1-line block ×4, first 2 shown]
	v_fma_f64 v[28:29], v[50:51], -0.5, v[0:1]
	v_add_f64 v[42:43], v[26:27], -v[34:35]
	v_add_f64 v[20:21], v[20:21], -v[16:17]
	v_add_f64 v[34:35], v[48:49], v[34:35]
	v_add_f64 v[32:33], v[46:47], v[32:33]
	v_fma_f64 v[12:13], v[36:37], s[2:3], v[30:31]
	v_fma_f64 v[0:1], v[36:37], s[0:1], v[30:31]
	;; [unrolled: 1-line block ×3, first 2 shown]
	v_mov_b32_e32 v36, s13
	v_fma_f64 v[24:25], v[42:43], s[2:3], v[28:29]
	v_fma_f64 v[28:29], v[42:43], s[0:1], v[28:29]
	;; [unrolled: 1-line block ×4, first 2 shown]
	v_add_f64 v[4:5], v[38:39], v[61:62]
	v_add_co_u32_e32 v38, vcc, s12, v76
	v_fma_f64 v[26:27], v[44:45], s[0:1], v[40:41]
	v_addc_co_u32_e32 v39, vcc, v36, v77, vcc
	v_lshlrev_b64 v[36:37], 4, v[74:75]
	s_movk_i32 s0, 0x4000
	v_add_co_u32_e32 v36, vcc, v38, v36
	v_addc_co_u32_e32 v37, vcc, v39, v37, vcc
	global_store_dwordx4 v[36:37], v[32:35], off
	s_nop 0
	v_add_co_u32_e32 v32, vcc, s4, v36
	v_addc_co_u32_e32 v33, vcc, 0, v37, vcc
	global_store_dwordx4 v[32:33], v[28:31], off offset:544
	s_nop 0
	v_add_co_u32_e32 v28, vcc, s0, v36
	v_addc_co_u32_e32 v29, vcc, 0, v37, vcc
	global_store_dwordx4 v[28:29], v[24:27], off offset:1088
	s_mov_b32 s0, 0xf00f00f1
	v_lshrrev_b32_e32 v24, 1, v84
	v_mul_hi_u32 v24, v24, s0
	global_store_dwordx4 v[36:37], v[4:7], off offset:2912
	global_store_dwordx4 v[32:33], v[0:3], off offset:3456
	;; [unrolled: 1-line block ×3, first 2 shown]
	s_movk_i32 s0, 0x444
	v_lshrrev_b32_e32 v0, 8, v24
	v_mad_u32_u24 v59, v0, s0, v84
	v_lshlrev_b64 v[0:1], 4, v[59:60]
	v_add_co_u32_e32 v0, vcc, v38, v0
	v_addc_co_u32_e32 v1, vcc, v39, v1, vcc
	v_add_co_u32_e32 v2, vcc, 0x2000, v0
	v_addc_co_u32_e32 v3, vcc, 0, v1, vcc
	global_store_dwordx4 v[0:1], v[8:11], off
	v_add_co_u32_e32 v0, vcc, 0x4000, v0
	v_addc_co_u32_e32 v1, vcc, 0, v1, vcc
	global_store_dwordx4 v[2:3], v[20:23], off offset:544
	global_store_dwordx4 v[0:1], v[16:19], off offset:1088
.LBB0_33:
	s_endpgm
	.section	.rodata,"a",@progbits
	.p2align	6, 0x0
	.amdhsa_kernel fft_rtc_fwd_len1638_factors_13_2_3_7_3_wgs_182_tpt_182_halfLds_dp_ip_CI_unitstride_sbrr_dirReg
		.amdhsa_group_segment_fixed_size 0
		.amdhsa_private_segment_fixed_size 0
		.amdhsa_kernarg_size 88
		.amdhsa_user_sgpr_count 6
		.amdhsa_user_sgpr_private_segment_buffer 1
		.amdhsa_user_sgpr_dispatch_ptr 0
		.amdhsa_user_sgpr_queue_ptr 0
		.amdhsa_user_sgpr_kernarg_segment_ptr 1
		.amdhsa_user_sgpr_dispatch_id 0
		.amdhsa_user_sgpr_flat_scratch_init 0
		.amdhsa_user_sgpr_private_segment_size 0
		.amdhsa_uses_dynamic_stack 0
		.amdhsa_system_sgpr_private_segment_wavefront_offset 0
		.amdhsa_system_sgpr_workgroup_id_x 1
		.amdhsa_system_sgpr_workgroup_id_y 0
		.amdhsa_system_sgpr_workgroup_id_z 0
		.amdhsa_system_sgpr_workgroup_info 0
		.amdhsa_system_vgpr_workitem_id 0
		.amdhsa_next_free_vgpr 210
		.amdhsa_next_free_sgpr 46
		.amdhsa_reserve_vcc 1
		.amdhsa_reserve_flat_scratch 0
		.amdhsa_float_round_mode_32 0
		.amdhsa_float_round_mode_16_64 0
		.amdhsa_float_denorm_mode_32 3
		.amdhsa_float_denorm_mode_16_64 3
		.amdhsa_dx10_clamp 1
		.amdhsa_ieee_mode 1
		.amdhsa_fp16_overflow 0
		.amdhsa_exception_fp_ieee_invalid_op 0
		.amdhsa_exception_fp_denorm_src 0
		.amdhsa_exception_fp_ieee_div_zero 0
		.amdhsa_exception_fp_ieee_overflow 0
		.amdhsa_exception_fp_ieee_underflow 0
		.amdhsa_exception_fp_ieee_inexact 0
		.amdhsa_exception_int_div_zero 0
	.end_amdhsa_kernel
	.text
.Lfunc_end0:
	.size	fft_rtc_fwd_len1638_factors_13_2_3_7_3_wgs_182_tpt_182_halfLds_dp_ip_CI_unitstride_sbrr_dirReg, .Lfunc_end0-fft_rtc_fwd_len1638_factors_13_2_3_7_3_wgs_182_tpt_182_halfLds_dp_ip_CI_unitstride_sbrr_dirReg
                                        ; -- End function
	.section	.AMDGPU.csdata,"",@progbits
; Kernel info:
; codeLenInByte = 11540
; NumSgprs: 50
; NumVgprs: 210
; ScratchSize: 0
; MemoryBound: 1
; FloatMode: 240
; IeeeMode: 1
; LDSByteSize: 0 bytes/workgroup (compile time only)
; SGPRBlocks: 6
; VGPRBlocks: 52
; NumSGPRsForWavesPerEU: 50
; NumVGPRsForWavesPerEU: 210
; Occupancy: 1
; WaveLimiterHint : 1
; COMPUTE_PGM_RSRC2:SCRATCH_EN: 0
; COMPUTE_PGM_RSRC2:USER_SGPR: 6
; COMPUTE_PGM_RSRC2:TRAP_HANDLER: 0
; COMPUTE_PGM_RSRC2:TGID_X_EN: 1
; COMPUTE_PGM_RSRC2:TGID_Y_EN: 0
; COMPUTE_PGM_RSRC2:TGID_Z_EN: 0
; COMPUTE_PGM_RSRC2:TIDIG_COMP_CNT: 0
	.type	__hip_cuid_38c2c64da0a5138d,@object ; @__hip_cuid_38c2c64da0a5138d
	.section	.bss,"aw",@nobits
	.globl	__hip_cuid_38c2c64da0a5138d
__hip_cuid_38c2c64da0a5138d:
	.byte	0                               ; 0x0
	.size	__hip_cuid_38c2c64da0a5138d, 1

	.ident	"AMD clang version 19.0.0git (https://github.com/RadeonOpenCompute/llvm-project roc-6.4.0 25133 c7fe45cf4b819c5991fe208aaa96edf142730f1d)"
	.section	".note.GNU-stack","",@progbits
	.addrsig
	.addrsig_sym __hip_cuid_38c2c64da0a5138d
	.amdgpu_metadata
---
amdhsa.kernels:
  - .args:
      - .actual_access:  read_only
        .address_space:  global
        .offset:         0
        .size:           8
        .value_kind:     global_buffer
      - .offset:         8
        .size:           8
        .value_kind:     by_value
      - .actual_access:  read_only
        .address_space:  global
        .offset:         16
        .size:           8
        .value_kind:     global_buffer
      - .actual_access:  read_only
        .address_space:  global
        .offset:         24
        .size:           8
        .value_kind:     global_buffer
      - .offset:         32
        .size:           8
        .value_kind:     by_value
      - .actual_access:  read_only
        .address_space:  global
        .offset:         40
        .size:           8
        .value_kind:     global_buffer
      - .actual_access:  read_only
        .address_space:  global
        .offset:         48
        .size:           8
        .value_kind:     global_buffer
      - .offset:         56
        .size:           4
        .value_kind:     by_value
      - .actual_access:  read_only
        .address_space:  global
        .offset:         64
        .size:           8
        .value_kind:     global_buffer
      - .actual_access:  read_only
        .address_space:  global
        .offset:         72
        .size:           8
        .value_kind:     global_buffer
      - .address_space:  global
        .offset:         80
        .size:           8
        .value_kind:     global_buffer
    .group_segment_fixed_size: 0
    .kernarg_segment_align: 8
    .kernarg_segment_size: 88
    .language:       OpenCL C
    .language_version:
      - 2
      - 0
    .max_flat_workgroup_size: 182
    .name:           fft_rtc_fwd_len1638_factors_13_2_3_7_3_wgs_182_tpt_182_halfLds_dp_ip_CI_unitstride_sbrr_dirReg
    .private_segment_fixed_size: 0
    .sgpr_count:     50
    .sgpr_spill_count: 0
    .symbol:         fft_rtc_fwd_len1638_factors_13_2_3_7_3_wgs_182_tpt_182_halfLds_dp_ip_CI_unitstride_sbrr_dirReg.kd
    .uniform_work_group_size: 1
    .uses_dynamic_stack: false
    .vgpr_count:     210
    .vgpr_spill_count: 0
    .wavefront_size: 64
amdhsa.target:   amdgcn-amd-amdhsa--gfx906
amdhsa.version:
  - 1
  - 2
...

	.end_amdgpu_metadata
